;; amdgpu-corpus repo=ROCm/rocFFT kind=compiled arch=gfx906 opt=O3
	.text
	.amdgcn_target "amdgcn-amd-amdhsa--gfx906"
	.amdhsa_code_object_version 6
	.protected	bluestein_single_back_len2187_dim1_sp_op_CI_CI ; -- Begin function bluestein_single_back_len2187_dim1_sp_op_CI_CI
	.globl	bluestein_single_back_len2187_dim1_sp_op_CI_CI
	.p2align	8
	.type	bluestein_single_back_len2187_dim1_sp_op_CI_CI,@function
bluestein_single_back_len2187_dim1_sp_op_CI_CI: ; @bluestein_single_back_len2187_dim1_sp_op_CI_CI
; %bb.0:
	s_load_dwordx4 s[16:19], s[4:5], 0x28
	v_mul_u32_u24_e32 v1, 0x10e, v0
	v_add_u32_sdwa v74, s6, v1 dst_sel:DWORD dst_unused:UNUSED_PAD src0_sel:DWORD src1_sel:WORD_1
	v_mov_b32_e32 v75, 0
	s_waitcnt lgkmcnt(0)
	v_cmp_gt_u64_e32 vcc, s[16:17], v[74:75]
	s_and_saveexec_b64 s[0:1], vcc
	s_cbranch_execz .LBB0_2
; %bb.1:
	s_load_dwordx4 s[0:3], s[4:5], 0x18
	s_load_dwordx4 s[8:11], s[4:5], 0x0
	s_movk_i32 s7, 0xf3
	v_mul_lo_u16_sdwa v1, v1, s7 dst_sel:DWORD dst_unused:UNUSED_PAD src0_sel:WORD_1 src1_sel:DWORD
	v_sub_u16_e32 v89, v0, v1
	s_waitcnt lgkmcnt(0)
	s_load_dwordx4 s[12:15], s[0:1], 0x0
	v_lshlrev_b32_e32 v87, 3, v89
	s_movk_i32 s6, 0x1000
	v_mov_b32_e32 v88, 0xffffda08
	global_load_dwordx2 v[85:86], v87, s[8:9]
	s_waitcnt lgkmcnt(0)
	v_mad_u64_u32 v[0:1], s[0:1], s14, v74, 0
	v_mad_u64_u32 v[2:3], s[0:1], s12, v89, 0
	s_movk_i32 s16, 0x3000
	v_add_u32_e32 v90, 0x1e00, v87
	v_mad_u64_u32 v[4:5], s[0:1], s15, v74, v[1:2]
	s_mul_i32 s15, s12, 0x16c8
	v_add_u32_e32 v93, 0x3500, v87
	v_mad_u64_u32 v[5:6], s[0:1], s13, v89, v[3:4]
	v_mov_b32_e32 v1, v4
	v_lshlrev_b64 v[0:1], 3, v[0:1]
	v_mov_b32_e32 v6, s19
	v_mov_b32_e32 v3, v5
	v_add_co_u32_e32 v4, vcc, s18, v0
	v_addc_co_u32_e32 v5, vcc, v6, v1, vcc
	v_lshlrev_b64 v[0:1], 3, v[2:3]
	s_mul_i32 s0, s13, 0x16c8
	v_add_co_u32_e32 v0, vcc, v4, v0
	v_addc_co_u32_e32 v1, vcc, v5, v1, vcc
	v_mov_b32_e32 v4, s9
	v_add_co_u32_e32 v94, vcc, s8, v87
	s_mul_hi_u32 s1, s12, 0x16c8
	v_addc_co_u32_e32 v95, vcc, 0, v4, vcc
	s_add_i32 s14, s1, s0
	global_load_dwordx2 v[2:3], v[0:1], off
	v_mov_b32_e32 v4, s14
	v_add_co_u32_e32 v0, vcc, s15, v0
	v_addc_co_u32_e32 v1, vcc, v1, v4, vcc
	v_add_co_u32_e32 v6, vcc, s6, v94
	v_addc_co_u32_e32 v7, vcc, 0, v95, vcc
	global_load_dwordx2 v[4:5], v[0:1], off
	v_mov_b32_e32 v8, s14
	v_add_co_u32_e32 v0, vcc, s15, v0
	v_addc_co_u32_e32 v1, vcc, v1, v8, vcc
	s_movk_i32 s0, 0x2000
	global_load_dwordx2 v[8:9], v[0:1], off
	v_add_co_u32_e32 v10, vcc, s0, v94
	v_mad_u64_u32 v[0:1], s[0:1], s12, v88, v[0:1]
	s_mul_i32 s0, s13, 0xffffda08
	s_sub_i32 s13, s0, s12
	v_addc_co_u32_e32 v11, vcc, 0, v95, vcc
	v_add_u32_e32 v1, s13, v1
	global_load_dwordx2 v[83:84], v[6:7], off offset:1736
	global_load_dwordx2 v[81:82], v[10:11], off offset:3472
	global_load_dwordx2 v[12:13], v[0:1], off
	global_load_dwordx2 v[79:80], v87, s[8:9] offset:1944
	v_mov_b32_e32 v14, s14
	v_add_co_u32_e32 v0, vcc, s15, v0
	v_addc_co_u32_e32 v1, vcc, v1, v14, vcc
	global_load_dwordx2 v[14:15], v[0:1], off
	global_load_dwordx2 v[75:76], v[6:7], off offset:3680
	v_mov_b32_e32 v6, s14
	v_add_co_u32_e32 v0, vcc, s15, v0
	v_addc_co_u32_e32 v1, vcc, v1, v6, vcc
	global_load_dwordx2 v[6:7], v[0:1], off
	v_mad_u64_u32 v[0:1], s[0:1], s12, v88, v[0:1]
	v_add_co_u32_e32 v16, vcc, s16, v94
	v_addc_co_u32_e32 v17, vcc, 0, v95, vcc
	v_add_u32_e32 v1, s13, v1
	global_load_dwordx2 v[77:78], v[16:17], off offset:1320
	global_load_dwordx2 v[18:19], v[0:1], off
	global_load_dwordx2 v[72:73], v87, s[8:9] offset:3888
	v_mov_b32_e32 v20, s14
	v_add_co_u32_e32 v0, vcc, s15, v0
	v_addc_co_u32_e32 v1, vcc, v1, v20, vcc
	global_load_dwordx2 v[20:21], v[0:1], off
	global_load_dwordx2 v[70:71], v[10:11], off offset:1528
	v_mov_b32_e32 v10, s14
	v_add_co_u32_e32 v0, vcc, s15, v0
	v_addc_co_u32_e32 v1, vcc, v1, v10, vcc
	global_load_dwordx2 v[10:11], v[0:1], off
	global_load_dwordx2 v[68:69], v[16:17], off offset:3264
	v_add_u32_e32 v92, 0xf00, v87
	v_add_u32_e32 v91, 0x2d80, v87
	s_load_dwordx4 s[0:3], s[2:3], 0x0
	v_add_co_u32_e32 v60, vcc, s7, v89
	s_movk_i32 s8, 0x1e6
	v_add_co_u32_e32 v64, vcc, s8, v89
	s_movk_i32 s8, 0xab
	v_mov_b32_e32 v65, s11
	s_load_dwordx2 s[4:5], s[4:5], 0x38
	s_waitcnt vmcnt(16)
	v_mul_f32_e32 v0, v3, v86
	v_mul_f32_e32 v1, v2, v86
	v_fmac_f32_e32 v0, v2, v85
	v_fma_f32 v1, v3, v85, -v1
	s_waitcnt vmcnt(13)
	v_mul_f32_e32 v2, v5, v84
	v_mul_f32_e32 v3, v4, v84
	v_fmac_f32_e32 v2, v4, v83
	v_fma_f32 v3, v5, v83, -v3
	ds_write_b64 v87, v[2:3] offset:5832
	s_waitcnt vmcnt(12)
	v_mul_f32_e32 v2, v9, v82
	v_mul_f32_e32 v3, v8, v82
	v_fmac_f32_e32 v2, v8, v81
	v_fma_f32 v3, v9, v81, -v3
	ds_write_b64 v87, v[2:3] offset:11664
	s_waitcnt vmcnt(10)
	v_mul_f32_e32 v2, v13, v80
	v_mul_f32_e32 v3, v12, v80
	v_fmac_f32_e32 v2, v12, v79
	v_fma_f32 v3, v13, v79, -v3
	ds_write2_b64 v87, v[0:1], v[2:3] offset1:243
	s_waitcnt vmcnt(8)
	v_mul_f32_e32 v0, v15, v76
	v_mul_f32_e32 v1, v14, v76
	v_fmac_f32_e32 v0, v14, v75
	v_fma_f32 v1, v15, v75, -v1
	s_waitcnt vmcnt(6)
	v_mul_f32_e32 v2, v7, v78
	s_waitcnt vmcnt(4)
	v_mul_f32_e32 v4, v19, v73
	v_mul_f32_e32 v5, v18, v73
	v_fmac_f32_e32 v4, v18, v72
	v_fma_f32 v5, v19, v72, -v5
	ds_write_b64 v87, v[4:5] offset:3888
	v_mul_f32_e32 v3, v6, v78
	s_waitcnt vmcnt(2)
	v_mul_f32_e32 v4, v21, v71
	v_mul_f32_e32 v5, v20, v71
	v_fmac_f32_e32 v4, v20, v70
	v_fma_f32 v5, v21, v70, -v5
	ds_write2_b64 v90, v[0:1], v[4:5] offset0:12 offset1:255
	v_fmac_f32_e32 v2, v6, v77
	s_waitcnt vmcnt(0)
	v_mul_f32_e32 v0, v11, v69
	v_mul_f32_e32 v1, v10, v69
	v_fma_f32 v3, v7, v77, -v3
	v_fmac_f32_e32 v0, v10, v68
	v_fma_f32 v1, v11, v68, -v1
	ds_write2_b64 v93, v[2:3], v[0:1] offset0:5 offset1:248
	s_waitcnt lgkmcnt(0)
	s_barrier
	ds_read2_b64 v[4:7], v92 offset0:6 offset1:249
	ds_read2_b64 v[8:11], v91 offset0:2 offset1:245
	ds_read2_b64 v[0:3], v87 offset1:243
	ds_read2_b64 v[12:15], v90 offset0:12 offset1:255
	ds_read_b64 v[16:17], v87 offset:15552
	s_waitcnt lgkmcnt(0)
	s_barrier
	v_add_f32_e32 v19, v6, v8
	v_add_f32_e32 v18, v0, v6
	v_fma_f32 v0, -0.5, v19, v0
	v_sub_f32_e32 v19, v7, v9
	v_mov_b32_e32 v20, v0
	v_fmac_f32_e32 v20, 0x3f5db3d7, v19
	v_fmac_f32_e32 v0, 0xbf5db3d7, v19
	v_add_f32_e32 v19, v1, v7
	v_add_f32_e32 v7, v7, v9
	v_fma_f32 v1, -0.5, v7, v1
	v_sub_f32_e32 v6, v6, v8
	v_mov_b32_e32 v21, v1
	v_add_f32_e32 v7, v12, v10
	v_fmac_f32_e32 v21, 0xbf5db3d7, v6
	v_fmac_f32_e32 v1, 0x3f5db3d7, v6
	v_add_f32_e32 v6, v2, v12
	v_fma_f32 v2, -0.5, v7, v2
	v_add_f32_e32 v18, v18, v8
	v_add_f32_e32 v19, v19, v9
	v_sub_f32_e32 v7, v13, v11
	v_mov_b32_e32 v8, v2
	v_add_f32_e32 v9, v13, v11
	v_fmac_f32_e32 v8, 0x3f5db3d7, v7
	v_fmac_f32_e32 v2, 0xbf5db3d7, v7
	v_add_f32_e32 v7, v3, v13
	v_fmac_f32_e32 v3, -0.5, v9
	v_add_f32_e32 v6, v6, v10
	v_add_f32_e32 v7, v7, v11
	v_sub_f32_e32 v10, v12, v10
	v_mov_b32_e32 v9, v3
	v_add_f32_e32 v11, v14, v16
	v_fmac_f32_e32 v9, 0xbf5db3d7, v10
	v_fmac_f32_e32 v3, 0x3f5db3d7, v10
	v_add_f32_e32 v10, v4, v14
	v_fma_f32 v4, -0.5, v11, v4
	v_sub_f32_e32 v11, v15, v17
	v_mov_b32_e32 v12, v4
	v_add_f32_e32 v13, v15, v17
	v_fmac_f32_e32 v12, 0x3f5db3d7, v11
	v_fmac_f32_e32 v4, 0xbf5db3d7, v11
	v_add_f32_e32 v11, v5, v15
	v_fmac_f32_e32 v5, -0.5, v13
	v_sub_f32_e32 v14, v14, v16
	v_mov_b32_e32 v13, v5
	v_fmac_f32_e32 v13, 0xbf5db3d7, v14
	v_fmac_f32_e32 v5, 0x3f5db3d7, v14
	v_mul_lo_u16_e32 v14, 3, v89
	v_lshlrev_b32_e32 v104, 3, v14
	ds_write2_b64 v104, v[18:19], v[20:21] offset1:1
	ds_write_b64 v104, v[0:1] offset:16
	v_mul_u32_u24_e32 v0, 3, v60
	v_lshlrev_b32_e32 v103, 3, v0
	v_mul_u32_u24_e32 v0, 3, v64
	v_lshlrev_b32_e32 v100, 3, v0
	v_mul_lo_u16_sdwa v0, v89, s8 dst_sel:DWORD dst_unused:UNUSED_PAD src0_sel:BYTE_0 src1_sel:DWORD
	v_lshrrev_b16_e32 v26, 9, v0
	v_mul_lo_u16_e32 v0, 3, v26
	v_sub_u16_e32 v0, v89, v0
	v_and_b32_e32 v27, 0xff, v0
	v_add_f32_e32 v10, v10, v16
	v_add_f32_e32 v11, v11, v17
	v_lshlrev_b32_e32 v0, 4, v27
	s_mov_b32 s8, 0xaaab
	ds_write2_b64 v103, v[6:7], v[8:9] offset1:1
	ds_write_b64 v103, v[2:3] offset:16
	ds_write2_b64 v100, v[10:11], v[12:13] offset1:1
	ds_write_b64 v100, v[4:5] offset:16
	s_waitcnt lgkmcnt(0)
	s_barrier
	global_load_dwordx4 v[4:7], v0, s[10:11]
	v_mul_u32_u24_sdwa v0, v60, s8 dst_sel:DWORD dst_unused:UNUSED_PAD src0_sel:WORD_0 src1_sel:DWORD
	v_lshrrev_b32_e32 v32, 17, v0
	v_mul_lo_u16_e32 v0, 3, v32
	v_sub_u16_e32 v33, v60, v0
	v_lshlrev_b16_e32 v0, 1, v33
	v_lshlrev_b32_e32 v0, 3, v0
	global_load_dwordx4 v[16:19], v0, s[10:11]
	v_mul_u32_u24_sdwa v0, v64, s8 dst_sel:DWORD dst_unused:UNUSED_PAD src0_sel:WORD_0 src1_sel:DWORD
	v_lshrrev_b32_e32 v34, 17, v0
	v_mul_lo_u16_e32 v0, 3, v34
	v_sub_u16_e32 v35, v64, v0
	v_lshlrev_b16_e32 v0, 1, v35
	v_lshlrev_b32_e32 v0, 3, v0
	global_load_dwordx4 v[28:31], v0, s[10:11]
	ds_read2_b64 v[0:3], v92 offset0:6 offset1:249
	ds_read2_b64 v[8:11], v87 offset1:243
	ds_read2_b64 v[12:15], v91 offset0:2 offset1:245
	ds_read2_b64 v[20:23], v90 offset0:12 offset1:255
	ds_read_b64 v[24:25], v87 offset:15552
	v_mul_u32_u24_e32 v26, 9, v26
	v_add_lshl_u32 v101, v26, v27, 3
	s_waitcnt vmcnt(0) lgkmcnt(0)
	s_barrier
	s_mov_b32 s8, 0xe38f
	v_mul_f32_e32 v36, v3, v5
	v_fma_f32 v36, v2, v4, -v36
	v_mul_f32_e32 v37, v2, v5
	v_mul_f32_e32 v2, v13, v7
	v_fma_f32 v38, v12, v6, -v2
	v_fmac_f32_e32 v37, v3, v4
	v_mul_f32_e32 v39, v12, v7
	v_mul_f32_e32 v2, v21, v17
	v_fma_f32 v40, v20, v16, -v2
	v_mul_f32_e32 v41, v20, v17
	v_mul_f32_e32 v2, v15, v19
	v_fmac_f32_e32 v41, v21, v16
	v_fma_f32 v21, v14, v18, -v2
	v_add_f32_e32 v3, v36, v38
	v_mul_f32_e32 v2, v23, v29
	v_fma_f32 v43, v22, v28, -v2
	v_mul_f32_e32 v2, v25, v31
	v_fmac_f32_e32 v39, v13, v6
	v_fma_f32 v45, v24, v30, -v2
	v_add_f32_e32 v2, v8, v36
	v_fma_f32 v8, -0.5, v3, v8
	v_sub_f32_e32 v3, v37, v39
	v_mov_b32_e32 v12, v8
	v_add_f32_e32 v13, v37, v39
	v_mul_f32_e32 v42, v14, v19
	v_fmac_f32_e32 v12, 0x3f5db3d7, v3
	v_fmac_f32_e32 v8, 0xbf5db3d7, v3
	v_add_f32_e32 v3, v9, v37
	v_fma_f32 v9, -0.5, v13, v9
	v_fmac_f32_e32 v42, v15, v18
	v_sub_f32_e32 v14, v36, v38
	v_mov_b32_e32 v13, v9
	v_add_f32_e32 v15, v40, v21
	v_fmac_f32_e32 v13, 0xbf5db3d7, v14
	v_fmac_f32_e32 v9, 0x3f5db3d7, v14
	v_add_f32_e32 v14, v10, v40
	v_fma_f32 v10, -0.5, v15, v10
	v_mul_f32_e32 v44, v22, v29
	v_sub_f32_e32 v15, v41, v42
	v_mov_b32_e32 v20, v10
	v_add_f32_e32 v22, v41, v42
	v_fmac_f32_e32 v20, 0x3f5db3d7, v15
	v_fmac_f32_e32 v10, 0xbf5db3d7, v15
	v_add_f32_e32 v15, v11, v41
	v_fmac_f32_e32 v11, -0.5, v22
	v_fmac_f32_e32 v44, v23, v28
	v_mul_f32_e32 v46, v24, v31
	v_add_f32_e32 v14, v14, v21
	v_sub_f32_e32 v22, v40, v21
	v_mov_b32_e32 v21, v11
	v_add_f32_e32 v23, v43, v45
	v_fmac_f32_e32 v46, v25, v30
	v_fmac_f32_e32 v21, 0xbf5db3d7, v22
	;; [unrolled: 1-line block ×3, first 2 shown]
	v_add_f32_e32 v22, v0, v43
	v_fma_f32 v0, -0.5, v23, v0
	v_add_f32_e32 v2, v2, v38
	v_add_f32_e32 v3, v3, v39
	v_sub_f32_e32 v23, v44, v46
	v_mov_b32_e32 v24, v0
	v_add_f32_e32 v25, v44, v46
	v_fmac_f32_e32 v24, 0x3f5db3d7, v23
	v_fmac_f32_e32 v0, 0xbf5db3d7, v23
	v_add_f32_e32 v23, v1, v44
	v_fmac_f32_e32 v1, -0.5, v25
	ds_write2_b64 v101, v[2:3], v[12:13] offset1:3
	ds_write_b64 v101, v[8:9] offset:48
	v_mad_legacy_u16 v2, v32, 9, v33
	v_sub_f32_e32 v36, v43, v45
	v_mov_b32_e32 v25, v1
	v_lshlrev_b32_e32 v97, 3, v2
	v_mad_legacy_u16 v2, v34, 9, v35
	v_add_f32_e32 v15, v15, v42
	v_add_f32_e32 v22, v22, v45
	;; [unrolled: 1-line block ×3, first 2 shown]
	v_fmac_f32_e32 v25, 0xbf5db3d7, v36
	v_lshlrev_b32_e32 v96, 3, v2
	v_fmac_f32_e32 v1, 0x3f5db3d7, v36
	ds_write2_b64 v97, v[14:15], v[20:21] offset1:3
	ds_write_b64 v97, v[10:11] offset:48
	ds_write2_b64 v96, v[22:23], v[24:25] offset1:3
	ds_write_b64 v96, v[0:1] offset:48
	v_mov_b32_e32 v0, 57
	v_mul_lo_u16_sdwa v0, v89, v0 dst_sel:DWORD dst_unused:UNUSED_PAD src0_sel:BYTE_0 src1_sel:DWORD
	v_mul_u32_u24_sdwa v8, v60, s8 dst_sel:DWORD dst_unused:UNUSED_PAD src0_sel:WORD_0 src1_sel:DWORD
	v_lshrrev_b16_e32 v32, 9, v0
	v_lshrrev_b32_e32 v36, 19, v8
	v_mul_lo_u16_e32 v0, 9, v32
	v_mul_lo_u16_e32 v8, 9, v36
	v_sub_u16_e32 v0, v89, v0
	v_sub_u16_e32 v37, v60, v8
	v_mul_u32_u24_sdwa v12, v64, s8 dst_sel:DWORD dst_unused:UNUSED_PAD src0_sel:WORD_0 src1_sel:DWORD
	v_and_b32_e32 v33, 0xff, v0
	v_lshlrev_b16_e32 v8, 4, v37
	v_lshrrev_b32_e32 v38, 19, v12
	v_lshlrev_b32_e32 v0, 4, v33
	v_add_co_u32_e32 v8, vcc, s10, v8
	v_mul_lo_u16_e32 v12, 9, v38
	s_waitcnt lgkmcnt(0)
	s_barrier
	global_load_dwordx4 v[0:3], v0, s[10:11] offset:48
	v_addc_co_u32_e32 v9, vcc, 0, v65, vcc
	v_sub_u16_e32 v39, v64, v12
	global_load_dwordx4 v[8:11], v[8:9], off offset:48
	v_lshlrev_b16_e32 v12, 4, v39
	v_add_co_u32_e32 v12, vcc, s10, v12
	v_addc_co_u32_e32 v13, vcc, 0, v65, vcc
	global_load_dwordx4 v[20:23], v[12:13], off offset:48
	ds_read2_b64 v[12:15], v91 offset0:2 offset1:245
	ds_read2_b64 v[24:27], v90 offset0:12 offset1:255
	v_mul_u32_u24_e32 v32, 27, v32
	v_add_lshl_u32 v98, v32, v33, 3
	v_mad_legacy_u16 v36, v36, 27, v37
	v_lshlrev_b32_e32 v99, 3, v36
	s_movk_i32 s8, 0x2f69
	s_waitcnt vmcnt(2) lgkmcnt(1)
	v_mul_f32_e32 v34, v13, v3
	v_fma_f32 v34, v12, v2, -v34
	v_mul_f32_e32 v35, v12, v3
	v_fmac_f32_e32 v35, v13, v2
	s_waitcnt vmcnt(1)
	v_mul_f32_e32 v12, v15, v11
	v_fma_f32 v40, v14, v10, -v12
	v_mul_f32_e32 v41, v14, v11
	s_waitcnt lgkmcnt(0)
	v_mul_f32_e32 v12, v25, v9
	v_fmac_f32_e32 v41, v15, v10
	v_fma_f32 v42, v24, v8, -v12
	ds_read2_b64 v[12:15], v92 offset0:6 offset1:249
	v_mul_f32_e32 v43, v24, v9
	s_waitcnt vmcnt(0)
	v_mul_f32_e32 v24, v27, v21
	v_mul_f32_e32 v45, v26, v21
	v_fmac_f32_e32 v43, v25, v8
	v_fma_f32 v44, v26, v20, -v24
	v_fmac_f32_e32 v45, v27, v20
	ds_read2_b64 v[24:27], v87 offset1:243
	s_waitcnt lgkmcnt(1)
	v_mul_f32_e32 v47, v14, v1
	v_mul_f32_e32 v46, v15, v1
	v_fmac_f32_e32 v47, v15, v0
	v_fma_f32 v46, v14, v0, -v46
	s_waitcnt lgkmcnt(0)
	v_add_f32_e32 v15, v25, v47
	v_add_f32_e32 v15, v15, v35
	v_sub_f32_e32 v48, v47, v35
	v_add_f32_e32 v35, v47, v35
	v_add_f32_e32 v47, v46, v34
	;; [unrolled: 1-line block ×3, first 2 shown]
	v_fma_f32 v24, -0.5, v47, v24
	v_fma_f32 v25, -0.5, v35, v25
	v_sub_f32_e32 v46, v46, v34
	v_mov_b32_e32 v32, v24
	v_mov_b32_e32 v33, v25
	v_add_f32_e32 v14, v14, v34
	v_fmac_f32_e32 v32, 0x3f5db3d7, v48
	v_fmac_f32_e32 v33, 0xbf5db3d7, v46
	ds_read_b64 v[34:35], v87 offset:15552
	v_fmac_f32_e32 v24, 0xbf5db3d7, v48
	v_fmac_f32_e32 v25, 0x3f5db3d7, v46
	s_waitcnt lgkmcnt(0)
	s_barrier
	ds_write2_b64 v98, v[14:15], v[32:33] offset1:9
	ds_write_b64 v98, v[24:25] offset:144
	v_add_f32_e32 v15, v42, v40
	v_add_f32_e32 v24, v43, v41
	;; [unrolled: 1-line block ×3, first 2 shown]
	v_fma_f32 v26, -0.5, v15, v26
	v_add_f32_e32 v15, v27, v43
	v_fmac_f32_e32 v27, -0.5, v24
	v_sub_f32_e32 v32, v43, v41
	v_sub_f32_e32 v33, v42, v40
	v_mov_b32_e32 v24, v26
	v_mov_b32_e32 v25, v27
	v_add_f32_e32 v14, v14, v40
	v_add_f32_e32 v15, v15, v41
	v_fmac_f32_e32 v24, 0x3f5db3d7, v32
	v_fmac_f32_e32 v25, 0xbf5db3d7, v33
	ds_write2_b64 v99, v[14:15], v[24:25] offset1:9
	v_mul_f32_e32 v14, v35, v23
	v_fma_f32 v15, v34, v22, -v14
	v_mul_f32_e32 v34, v34, v23
	v_add_f32_e32 v14, v44, v15
	v_fmac_f32_e32 v34, v35, v22
	v_add_f32_e32 v24, v12, v44
	v_fma_f32 v12, -0.5, v14, v12
	v_fmac_f32_e32 v26, 0xbf5db3d7, v32
	v_sub_f32_e32 v25, v45, v34
	v_mov_b32_e32 v14, v12
	v_add_f32_e32 v32, v45, v34
	v_fmac_f32_e32 v27, 0x3f5db3d7, v33
	v_fmac_f32_e32 v14, 0x3f5db3d7, v25
	;; [unrolled: 1-line block ×3, first 2 shown]
	v_add_f32_e32 v25, v13, v45
	v_fmac_f32_e32 v13, -0.5, v32
	v_add_f32_e32 v24, v24, v15
	v_sub_f32_e32 v32, v44, v15
	v_mov_b32_e32 v15, v13
	ds_write_b64 v99, v[26:27] offset:144
	v_mad_legacy_u16 v26, v38, 27, v39
	v_add_f32_e32 v25, v25, v34
	v_fmac_f32_e32 v15, 0xbf5db3d7, v32
	v_lshlrev_b32_e32 v102, 3, v26
	v_fmac_f32_e32 v13, 0x3f5db3d7, v32
	ds_write2_b64 v102, v[24:25], v[14:15] offset1:9
	ds_write_b64 v102, v[12:13] offset:144
	v_mov_b32_e32 v12, 19
	v_mul_lo_u16_sdwa v12, v89, v12 dst_sel:DWORD dst_unused:UNUSED_PAD src0_sel:BYTE_0 src1_sel:DWORD
	v_lshrrev_b16_e32 v44, 9, v12
	v_mul_lo_u16_e32 v12, 27, v44
	v_sub_u16_e32 v12, v89, v12
	v_and_b32_e32 v45, 0xff, v12
	v_mul_u32_u24_sdwa v12, v60, s8 dst_sel:DWORD dst_unused:UNUSED_PAD src0_sel:WORD_0 src1_sel:DWORD
	v_sub_u16_sdwa v13, v60, v12 dst_sel:DWORD dst_unused:UNUSED_PAD src0_sel:DWORD src1_sel:WORD_1
	v_lshrrev_b16_e32 v13, 1, v13
	v_add_u16_sdwa v12, v13, v12 dst_sel:DWORD dst_unused:UNUSED_PAD src0_sel:DWORD src1_sel:WORD_1
	v_lshrrev_b16_e32 v48, 4, v12
	v_mul_lo_u16_e32 v12, 27, v48
	v_sub_u16_e32 v49, v60, v12
	v_lshlrev_b16_e32 v12, 4, v49
	v_lshlrev_b32_e32 v34, 4, v45
	v_add_co_u32_e32 v32, vcc, s10, v12
	s_waitcnt lgkmcnt(0)
	s_barrier
	v_addc_co_u32_e32 v33, vcc, 0, v65, vcc
	global_load_dwordx4 v[12:15], v34, s[10:11] offset:192
	global_load_dwordx4 v[24:27], v[32:33], off offset:192
	v_mul_u32_u24_sdwa v32, v64, s8 dst_sel:DWORD dst_unused:UNUSED_PAD src0_sel:WORD_0 src1_sel:DWORD
	v_sub_u16_sdwa v33, v64, v32 dst_sel:DWORD dst_unused:UNUSED_PAD src0_sel:DWORD src1_sel:WORD_1
	v_lshrrev_b16_e32 v33, 1, v33
	v_add_u16_sdwa v32, v33, v32 dst_sel:DWORD dst_unused:UNUSED_PAD src0_sel:DWORD src1_sel:WORD_1
	v_lshrrev_b16_e32 v50, 4, v32
	v_mul_lo_u16_e32 v32, 27, v50
	v_sub_u16_e32 v51, v64, v32
	v_lshlrev_b16_e32 v32, 4, v51
	v_add_co_u32_e32 v32, vcc, s10, v32
	v_addc_co_u32_e32 v33, vcc, 0, v65, vcc
	global_load_dwordx4 v[32:35], v[32:33], off offset:192
	ds_read2_b64 v[36:39], v91 offset0:2 offset1:245
	v_mul_u32_u24_e32 v44, 0x51, v44
	v_add_lshl_u32 v106, v44, v45, 3
	s_movk_i32 s8, 0x51
	v_mad_legacy_u16 v48, v48, s8, v49
	v_lshlrev_b32_e32 v105, 3, v48
	s_waitcnt vmcnt(2) lgkmcnt(0)
	v_mul_f32_e32 v40, v37, v15
	v_fma_f32 v46, v36, v14, -v40
	ds_read2_b64 v[40:43], v90 offset0:12 offset1:255
	v_mul_f32_e32 v47, v36, v15
	s_waitcnt vmcnt(1)
	v_mul_f32_e32 v36, v39, v27
	v_fma_f32 v52, v38, v26, -v36
	v_mul_f32_e32 v53, v38, v27
	s_waitcnt lgkmcnt(0)
	v_mul_f32_e32 v36, v41, v25
	v_fmac_f32_e32 v47, v37, v14
	v_fmac_f32_e32 v53, v39, v26
	v_fma_f32 v54, v40, v24, -v36
	ds_read2_b64 v[36:39], v92 offset0:6 offset1:249
	v_mul_f32_e32 v55, v40, v25
	v_fmac_f32_e32 v55, v41, v24
	s_waitcnt vmcnt(0)
	v_mul_f32_e32 v40, v43, v33
	v_mul_f32_e32 v57, v42, v33
	v_fma_f32 v56, v42, v32, -v40
	v_fmac_f32_e32 v57, v43, v32
	ds_read2_b64 v[40:43], v87 offset1:243
	s_waitcnt lgkmcnt(1)
	v_mul_f32_e32 v59, v38, v13
	v_mul_f32_e32 v58, v39, v13
	v_fmac_f32_e32 v59, v39, v12
	v_fma_f32 v58, v38, v12, -v58
	s_waitcnt lgkmcnt(0)
	v_add_f32_e32 v39, v41, v59
	v_add_f32_e32 v39, v39, v47
	v_sub_f32_e32 v61, v59, v47
	v_add_f32_e32 v47, v59, v47
	v_add_f32_e32 v59, v58, v46
	;; [unrolled: 1-line block ×3, first 2 shown]
	v_fma_f32 v40, -0.5, v59, v40
	v_fma_f32 v41, -0.5, v47, v41
	v_sub_f32_e32 v58, v58, v46
	v_mov_b32_e32 v44, v40
	v_mov_b32_e32 v45, v41
	v_add_f32_e32 v38, v38, v46
	v_fmac_f32_e32 v44, 0x3f5db3d7, v61
	v_fmac_f32_e32 v45, 0xbf5db3d7, v58
	ds_read_b64 v[46:47], v87 offset:15552
	v_fmac_f32_e32 v40, 0xbf5db3d7, v61
	v_fmac_f32_e32 v41, 0x3f5db3d7, v58
	s_waitcnt lgkmcnt(0)
	s_barrier
	ds_write2_b64 v106, v[38:39], v[44:45] offset1:27
	ds_write_b64 v106, v[40:41] offset:432
	v_add_f32_e32 v39, v54, v52
	v_add_f32_e32 v40, v55, v53
	;; [unrolled: 1-line block ×3, first 2 shown]
	v_fma_f32 v42, -0.5, v39, v42
	v_add_f32_e32 v39, v43, v55
	v_fmac_f32_e32 v43, -0.5, v40
	v_sub_f32_e32 v44, v55, v53
	v_sub_f32_e32 v45, v54, v52
	v_mov_b32_e32 v40, v42
	v_mov_b32_e32 v41, v43
	v_add_f32_e32 v38, v38, v52
	v_add_f32_e32 v39, v39, v53
	v_fmac_f32_e32 v40, 0x3f5db3d7, v44
	v_fmac_f32_e32 v41, 0xbf5db3d7, v45
	ds_write2_b64 v105, v[38:39], v[40:41] offset1:27
	v_mul_f32_e32 v38, v47, v35
	v_fma_f32 v40, v46, v34, -v38
	v_mul_f32_e32 v41, v46, v35
	v_add_f32_e32 v39, v56, v40
	v_fmac_f32_e32 v42, 0xbf5db3d7, v44
	v_fmac_f32_e32 v43, 0x3f5db3d7, v45
	;; [unrolled: 1-line block ×3, first 2 shown]
	v_add_f32_e32 v38, v36, v56
	v_fma_f32 v36, -0.5, v39, v36
	v_add_f32_e32 v39, v37, v57
	ds_write_b64 v105, v[42:43] offset:432
	v_add_f32_e32 v39, v39, v41
	v_sub_f32_e32 v42, v57, v41
	v_add_f32_e32 v41, v57, v41
	v_fmac_f32_e32 v37, -0.5, v41
	v_sub_f32_e32 v43, v56, v40
	v_mad_legacy_u16 v44, v50, s8, v51
	v_add_f32_e32 v38, v38, v40
	v_mov_b32_e32 v40, v36
	v_mov_b32_e32 v41, v37
	v_lshlrev_b32_e32 v107, 3, v44
	v_fmac_f32_e32 v36, 0xbf5db3d7, v42
	v_fmac_f32_e32 v37, 0x3f5db3d7, v43
	s_movk_i32 s8, 0xcb
	ds_write_b64 v107, v[36:37] offset:432
	v_mul_lo_u16_sdwa v36, v89, s8 dst_sel:DWORD dst_unused:UNUSED_PAD src0_sel:BYTE_0 src1_sel:DWORD
	v_lshrrev_b16_e32 v56, 14, v36
	v_mul_lo_u16_e32 v36, 0x51, v56
	v_sub_u16_e32 v36, v89, v36
	s_movk_i32 s8, 0x6523
	v_and_b32_e32 v57, 0xff, v36
	v_mul_u32_u24_sdwa v36, v60, s8 dst_sel:DWORD dst_unused:UNUSED_PAD src0_sel:WORD_0 src1_sel:DWORD
	v_fmac_f32_e32 v40, 0x3f5db3d7, v42
	v_fmac_f32_e32 v41, 0xbf5db3d7, v43
	v_lshrrev_b32_e32 v61, 21, v36
	v_lshlrev_b32_e32 v37, 4, v57
	ds_write2_b64 v107, v[38:39], v[40:41] offset1:27
	s_waitcnt lgkmcnt(0)
	s_barrier
	v_mul_lo_u16_e32 v36, 0x51, v61
	global_load_dwordx4 v[40:43], v37, s[10:11] offset:624
	v_sub_u16_e32 v62, v60, v36
	v_mul_u32_u24_sdwa v44, v64, s8 dst_sel:DWORD dst_unused:UNUSED_PAD src0_sel:WORD_0 src1_sel:DWORD
	v_lshlrev_b16_e32 v36, 4, v62
	v_lshrrev_b32_e32 v63, 21, v44
	v_add_co_u32_e32 v36, vcc, s10, v36
	v_mul_lo_u16_e32 v44, 0x51, v63
	v_addc_co_u32_e32 v37, vcc, 0, v65, vcc
	v_sub_u16_e32 v66, v64, v44
	global_load_dwordx4 v[36:39], v[36:37], off offset:624
	v_lshlrev_b16_e32 v44, 4, v66
	v_add_co_u32_e32 v44, vcc, s10, v44
	v_addc_co_u32_e32 v45, vcc, 0, v65, vcc
	global_load_dwordx4 v[44:47], v[44:45], off offset:624
	ds_read2_b64 v[48:51], v91 offset0:2 offset1:245
	v_mul_u32_u24_e32 v56, 0xf3, v56
	v_mad_legacy_u16 v61, v61, s7, v62
	v_lshlrev_b32_e32 v60, 4, v60
	s_waitcnt vmcnt(2) lgkmcnt(0)
	v_mul_f32_e32 v52, v49, v43
	v_fma_f32 v58, v48, v42, -v52
	ds_read2_b64 v[52:55], v90 offset0:12 offset1:255
	v_mul_f32_e32 v59, v48, v43
	v_fmac_f32_e32 v59, v49, v42
	s_waitcnt vmcnt(1)
	v_mul_f32_e32 v48, v51, v39
	v_fma_f32 v67, v50, v38, -v48
	v_mul_f32_e32 v109, v50, v39
	s_waitcnt lgkmcnt(0)
	v_mul_f32_e32 v48, v53, v37
	v_fmac_f32_e32 v109, v51, v38
	v_fma_f32 v110, v52, v36, -v48
	ds_read2_b64 v[48:51], v92 offset0:6 offset1:249
	v_mul_f32_e32 v111, v52, v37
	s_waitcnt vmcnt(0)
	v_mul_f32_e32 v52, v55, v45
	v_mul_f32_e32 v113, v54, v45
	v_fmac_f32_e32 v111, v53, v36
	v_fma_f32 v112, v54, v44, -v52
	v_fmac_f32_e32 v113, v55, v44
	ds_read2_b64 v[52:55], v87 offset1:243
	s_waitcnt lgkmcnt(1)
	v_mul_f32_e32 v114, v50, v41
	v_mul_f32_e32 v108, v51, v41
	v_fmac_f32_e32 v114, v51, v40
	v_fma_f32 v108, v50, v40, -v108
	s_waitcnt lgkmcnt(0)
	v_add_f32_e32 v51, v53, v114
	v_add_f32_e32 v51, v51, v59
	v_sub_f32_e32 v115, v114, v59
	v_add_f32_e32 v59, v114, v59
	v_add_f32_e32 v114, v108, v58
	;; [unrolled: 1-line block ×3, first 2 shown]
	v_fma_f32 v52, -0.5, v114, v52
	v_fma_f32 v53, -0.5, v59, v53
	v_sub_f32_e32 v114, v108, v58
	v_add_lshl_u32 v108, v56, v57, 3
	v_mov_b32_e32 v56, v52
	v_mov_b32_e32 v57, v53
	v_add_f32_e32 v50, v50, v58
	v_fmac_f32_e32 v56, 0x3f5db3d7, v115
	v_fmac_f32_e32 v57, 0xbf5db3d7, v114
	ds_read_b64 v[58:59], v87 offset:15552
	v_fmac_f32_e32 v52, 0xbf5db3d7, v115
	v_fmac_f32_e32 v53, 0x3f5db3d7, v114
	s_waitcnt lgkmcnt(0)
	s_barrier
	ds_write2_b64 v108, v[50:51], v[56:57] offset1:81
	ds_write_b64 v108, v[52:53] offset:1296
	v_add_f32_e32 v51, v110, v67
	v_add_f32_e32 v52, v111, v109
	;; [unrolled: 1-line block ×3, first 2 shown]
	v_fma_f32 v54, -0.5, v51, v54
	v_add_f32_e32 v51, v55, v111
	v_fmac_f32_e32 v55, -0.5, v52
	v_sub_f32_e32 v56, v111, v109
	v_sub_f32_e32 v57, v110, v67
	v_mov_b32_e32 v52, v54
	v_mov_b32_e32 v53, v55
	v_add_f32_e32 v50, v50, v67
	v_add_f32_e32 v51, v51, v109
	v_fmac_f32_e32 v52, 0x3f5db3d7, v56
	v_fmac_f32_e32 v53, 0xbf5db3d7, v57
	v_lshlrev_b32_e32 v109, 3, v61
	ds_write2_b64 v109, v[50:51], v[52:53] offset1:81
	v_mul_f32_e32 v50, v59, v47
	v_fma_f32 v52, v58, v46, -v50
	v_mul_f32_e32 v53, v58, v47
	v_add_f32_e32 v51, v112, v52
	v_fmac_f32_e32 v54, 0xbf5db3d7, v56
	v_fmac_f32_e32 v55, 0x3f5db3d7, v57
	;; [unrolled: 1-line block ×3, first 2 shown]
	v_add_f32_e32 v50, v48, v112
	v_fma_f32 v48, -0.5, v51, v48
	v_add_f32_e32 v51, v49, v113
	ds_write_b64 v109, v[54:55] offset:1296
	v_add_f32_e32 v51, v51, v53
	v_sub_f32_e32 v54, v113, v53
	v_add_f32_e32 v53, v113, v53
	v_fmac_f32_e32 v49, -0.5, v53
	v_add_f32_e32 v50, v50, v52
	v_sub_f32_e32 v55, v112, v52
	v_mad_legacy_u16 v56, v63, s7, v66
	v_mov_b32_e32 v52, v48
	v_mov_b32_e32 v53, v49
	v_fmac_f32_e32 v52, 0x3f5db3d7, v54
	v_fmac_f32_e32 v53, 0xbf5db3d7, v55
	v_lshlrev_b32_e32 v110, 3, v56
	v_fmac_f32_e32 v48, 0xbf5db3d7, v54
	v_fmac_f32_e32 v49, 0x3f5db3d7, v55
	v_lshlrev_b32_e32 v63, 4, v89
	ds_write2_b64 v110, v[50:51], v[52:53] offset1:81
	ds_write_b64 v110, v[48:49] offset:1296
	s_waitcnt lgkmcnt(0)
	s_barrier
	global_load_dwordx4 v[48:51], v63, s[10:11] offset:1920
	s_movk_i32 s7, 0xdb3
	v_mul_u32_u24_sdwa v52, v64, s7 dst_sel:DWORD dst_unused:UNUSED_PAD src0_sel:WORD_0 src1_sel:DWORD
	v_sub_u16_sdwa v53, v64, v52 dst_sel:DWORD dst_unused:UNUSED_PAD src0_sel:DWORD src1_sel:WORD_1
	v_lshrrev_b16_e32 v53, 1, v53
	v_add_u16_sdwa v52, v53, v52 dst_sel:DWORD dst_unused:UNUSED_PAD src0_sel:DWORD src1_sel:WORD_1
	v_lshrrev_b16_e32 v52, 7, v52
	v_mul_lo_u16_e32 v52, 0xf3, v52
	v_sub_u16_e32 v119, v64, v52
	v_lshlrev_b16_e32 v52, 4, v119
	v_add_co_u32_e32 v52, vcc, s10, v52
	v_addc_co_u32_e32 v53, vcc, 0, v65, vcc
	global_load_dwordx4 v[52:55], v[52:53], off offset:1920
	ds_read2_b64 v[56:59], v91 offset0:2 offset1:245
	ds_read2_b64 v[113:116], v92 offset0:6 offset1:249
	v_lshlrev_b32_e32 v64, 4, v64
	s_waitcnt vmcnt(1) lgkmcnt(1)
	v_mul_f32_e32 v61, v57, v51
	v_fma_f32 v66, v56, v50, -v61
	v_mul_f32_e32 v67, v56, v51
	v_mul_f32_e32 v56, v59, v51
	;; [unrolled: 1-line block ×3, first 2 shown]
	v_fmac_f32_e32 v67, v57, v50
	v_fma_f32 v120, v58, v50, -v56
	v_fmac_f32_e32 v121, v59, v50
	ds_read2_b64 v[56:59], v87 offset1:243
	s_waitcnt lgkmcnt(1)
	v_mul_f32_e32 v112, v115, v49
	v_mul_f32_e32 v61, v116, v49
	v_fmac_f32_e32 v112, v116, v48
	v_fma_f32 v111, v115, v48, -v61
	s_waitcnt lgkmcnt(0)
	v_add_f32_e32 v62, v57, v112
	v_add_f32_e32 v62, v62, v67
	v_sub_f32_e32 v122, v112, v67
	v_add_f32_e32 v67, v112, v67
	v_add_f32_e32 v112, v111, v66
	;; [unrolled: 1-line block ×3, first 2 shown]
	v_fma_f32 v56, -0.5, v112, v56
	v_sub_f32_e32 v123, v111, v66
	ds_read_b64 v[111:112], v87 offset:15552
	ds_read2_b64 v[115:118], v90 offset0:12 offset1:255
	v_fma_f32 v57, -0.5, v67, v57
	v_add_f32_e32 v61, v61, v66
	v_mov_b32_e32 v66, v56
	v_mov_b32_e32 v67, v57
	v_fmac_f32_e32 v66, 0x3f5db3d7, v122
	v_fmac_f32_e32 v67, 0xbf5db3d7, v123
	s_waitcnt vmcnt(0) lgkmcnt(0)
	s_barrier
	ds_write2_b64 v87, v[61:62], v[66:67] offset1:243
	v_mul_f32_e32 v61, v116, v49
	v_mul_f32_e32 v67, v115, v49
	v_fma_f32 v66, v115, v48, -v61
	v_fmac_f32_e32 v67, v116, v48
	v_add_f32_e32 v61, v58, v66
	v_add_f32_e32 v62, v59, v67
	v_fmac_f32_e32 v56, 0xbf5db3d7, v122
	v_fmac_f32_e32 v57, 0x3f5db3d7, v123
	v_add_f32_e32 v61, v61, v120
	v_add_f32_e32 v62, v62, v121
	ds_write2_b64 v92, v[56:57], v[61:62] offset0:6 offset1:249
	v_add_f32_e32 v56, v66, v120
	v_fma_f32 v58, -0.5, v56, v58
	v_sub_f32_e32 v57, v67, v121
	v_mov_b32_e32 v56, v58
	v_fmac_f32_e32 v56, 0x3f5db3d7, v57
	v_fmac_f32_e32 v58, 0xbf5db3d7, v57
	v_add_f32_e32 v57, v67, v121
	v_fmac_f32_e32 v59, -0.5, v57
	v_sub_f32_e32 v61, v66, v120
	v_mov_b32_e32 v57, v59
	v_fmac_f32_e32 v57, 0xbf5db3d7, v61
	v_fmac_f32_e32 v59, 0x3f5db3d7, v61
	ds_write2_b64 v90, v[56:57], v[58:59] offset0:12 offset1:255
	v_mul_f32_e32 v56, v118, v53
	v_fma_f32 v58, v117, v52, -v56
	v_mul_f32_e32 v56, v112, v55
	v_mul_f32_e32 v59, v117, v53
	v_fma_f32 v61, v111, v54, -v56
	v_mul_f32_e32 v62, v111, v55
	v_fmac_f32_e32 v59, v118, v52
	v_fmac_f32_e32 v62, v112, v54
	v_add_f32_e32 v57, v58, v61
	v_add_f32_e32 v56, v113, v58
	v_fma_f32 v113, -0.5, v57, v113
	v_add_f32_e32 v57, v114, v59
	v_sub_f32_e32 v66, v59, v62
	v_add_f32_e32 v59, v59, v62
	v_fmac_f32_e32 v114, -0.5, v59
	v_add_f32_e32 v56, v56, v61
	v_sub_f32_e32 v61, v58, v61
	v_mov_b32_e32 v58, v113
	v_mov_b32_e32 v59, v114
	v_lshlrev_b32_e32 v111, 3, v119
	v_add_f32_e32 v57, v57, v62
	v_fmac_f32_e32 v58, 0x3f5db3d7, v66
	v_fmac_f32_e32 v59, 0xbf5db3d7, v61
	v_add_u32_e32 v112, 0x2d80, v111
	ds_write2_b64 v112, v[56:57], v[58:59] offset0:2 offset1:245
	v_add_co_u32_e32 v56, vcc, s10, v63
	v_addc_co_u32_e32 v57, vcc, 0, v65, vcc
	v_add_co_u32_e32 v56, vcc, s6, v56
	v_fmac_f32_e32 v113, 0xbf5db3d7, v66
	v_fmac_f32_e32 v114, 0x3f5db3d7, v61
	v_addc_co_u32_e32 v57, vcc, 0, v57, vcc
	ds_write_b64 v111, v[113:114] offset:15552
	s_waitcnt lgkmcnt(0)
	s_barrier
	global_load_dwordx4 v[56:59], v[56:57], off offset:1712
	v_add_co_u32_e32 v60, vcc, s10, v60
	v_addc_co_u32_e32 v61, vcc, 0, v65, vcc
	v_add_co_u32_e32 v60, vcc, s6, v60
	v_addc_co_u32_e32 v61, vcc, 0, v61, vcc
	global_load_dwordx4 v[60:63], v[60:61], off offset:1712
	v_add_co_u32_e32 v64, vcc, s10, v64
	v_addc_co_u32_e32 v65, vcc, 0, v65, vcc
	v_add_co_u32_e32 v64, vcc, s6, v64
	v_addc_co_u32_e32 v65, vcc, 0, v65, vcc
	global_load_dwordx4 v[64:67], v[64:65], off offset:1712
	ds_read2_b64 v[113:116], v91 offset0:2 offset1:245
	s_movk_i32 s6, 0x4000
	s_waitcnt vmcnt(2) lgkmcnt(0)
	v_mul_f32_e32 v117, v114, v59
	v_fma_f32 v121, v113, v58, -v117
	ds_read2_b64 v[117:120], v90 offset0:12 offset1:255
	v_mul_f32_e32 v122, v113, v59
	v_fmac_f32_e32 v122, v114, v58
	s_waitcnt vmcnt(1)
	v_mul_f32_e32 v113, v116, v63
	v_fma_f32 v123, v115, v62, -v113
	v_mul_f32_e32 v124, v115, v63
	s_waitcnt lgkmcnt(0)
	v_mul_f32_e32 v113, v118, v61
	v_fmac_f32_e32 v124, v116, v62
	v_fma_f32 v125, v117, v60, -v113
	ds_read2_b64 v[113:116], v92 offset0:6 offset1:249
	v_mul_f32_e32 v126, v117, v61
	v_fmac_f32_e32 v126, v118, v60
	s_waitcnt vmcnt(0)
	v_mul_f32_e32 v117, v120, v65
	v_mul_f32_e32 v128, v119, v65
	v_fma_f32 v127, v119, v64, -v117
	v_fmac_f32_e32 v128, v120, v64
	ds_read2_b64 v[117:120], v87 offset1:243
	s_waitcnt lgkmcnt(1)
	v_mul_f32_e32 v130, v115, v57
	v_mul_f32_e32 v129, v116, v57
	v_fmac_f32_e32 v130, v116, v56
	v_fma_f32 v129, v115, v56, -v129
	s_waitcnt lgkmcnt(0)
	v_add_f32_e32 v116, v118, v130
	v_add_f32_e32 v116, v116, v122
	v_sub_f32_e32 v131, v130, v122
	v_add_f32_e32 v122, v130, v122
	v_add_f32_e32 v130, v129, v121
	;; [unrolled: 1-line block ×3, first 2 shown]
	v_fma_f32 v117, -0.5, v130, v117
	v_fma_f32 v118, -0.5, v122, v118
	v_sub_f32_e32 v129, v129, v121
	v_add_f32_e32 v115, v115, v121
	v_mov_b32_e32 v121, v117
	v_mov_b32_e32 v122, v118
	v_fmac_f32_e32 v117, 0xbf5db3d7, v131
	v_fmac_f32_e32 v118, 0x3f5db3d7, v129
	ds_write_b64 v87, v[117:118] offset:11664
	ds_read_b64 v[117:118], v87 offset:15552
	v_fmac_f32_e32 v121, 0x3f5db3d7, v131
	v_fmac_f32_e32 v122, 0xbf5db3d7, v129
	ds_write_b64 v87, v[121:122] offset:5832
	v_add_f32_e32 v121, v119, v125
	v_add_f32_e32 v122, v120, v126
	;; [unrolled: 1-line block ×4, first 2 shown]
	ds_write2_b64 v87, v[115:116], v[121:122] offset1:243
	s_waitcnt lgkmcnt(2)
	v_mul_f32_e32 v115, v118, v67
	v_fma_f32 v121, v117, v66, -v115
	v_add_f32_e32 v115, v125, v123
	v_mul_f32_e32 v122, v117, v67
	v_fma_f32 v119, -0.5, v115, v119
	v_add_f32_e32 v115, v126, v124
	v_fmac_f32_e32 v122, v118, v66
	v_fmac_f32_e32 v120, -0.5, v115
	v_add_f32_e32 v115, v127, v121
	v_sub_f32_e32 v129, v126, v124
	v_add_f32_e32 v124, v113, v127
	v_fma_f32 v113, -0.5, v115, v113
	v_add_f32_e32 v115, v128, v122
	v_sub_f32_e32 v123, v125, v123
	v_add_f32_e32 v125, v114, v128
	v_fmac_f32_e32 v114, -0.5, v115
	v_sub_f32_e32 v126, v128, v122
	v_sub_f32_e32 v127, v127, v121
	v_mov_b32_e32 v115, v119
	v_fmac_f32_e32 v119, 0xbf5db3d7, v129
	v_mov_b32_e32 v116, v120
	v_fmac_f32_e32 v120, 0x3f5db3d7, v123
	;; [unrolled: 2-line block ×4, first 2 shown]
	ds_write2_b64 v93, v[119:120], v[113:114] offset0:5 offset1:248
	v_add_f32_e32 v113, v124, v121
	v_add_f32_e32 v114, v125, v122
	ds_write_b64 v87, v[113:114] offset:3888
	v_add_co_u32_e32 v113, vcc, s6, v94
	v_fmac_f32_e32 v115, 0x3f5db3d7, v129
	v_fmac_f32_e32 v116, 0xbf5db3d7, v123
	;; [unrolled: 1-line block ×4, first 2 shown]
	v_addc_co_u32_e32 v114, vcc, 0, v95, vcc
	ds_write2_b64 v90, v[115:116], v[117:118] offset0:12 offset1:255
	s_waitcnt lgkmcnt(0)
	s_barrier
	global_load_dwordx2 v[117:118], v[113:114], off offset:1112
	s_movk_i32 s6, 0x4458
	v_add_co_u32_e32 v113, vcc, s6, v94
	v_addc_co_u32_e32 v114, vcc, 0, v95, vcc
	s_movk_i32 s6, 0x7000
	global_load_dwordx2 v[121:122], v[113:114], off offset:1944
	v_add_co_u32_e32 v115, vcc, s6, v94
	v_addc_co_u32_e32 v116, vcc, 0, v95, vcc
	global_load_dwordx2 v[123:124], v[115:116], off offset:488
	global_load_dwordx2 v[125:126], v[115:116], off offset:2432
	s_movk_i32 s6, 0x5000
	v_add_co_u32_e32 v115, vcc, s6, v94
	v_addc_co_u32_e32 v116, vcc, 0, v95, vcc
	global_load_dwordx2 v[127:128], v[115:116], off offset:2848
	global_load_dwordx2 v[129:130], v[113:114], off offset:3888
	s_movk_i32 s6, 0x6000
	v_add_co_u32_e32 v113, vcc, s6, v94
	v_addc_co_u32_e32 v114, vcc, 0, v95, vcc
	global_load_dwordx2 v[131:132], v[113:114], off offset:696
	global_load_dwordx2 v[133:134], v[113:114], off offset:2640
	s_mov_b32 s6, 0x8000
	v_add_co_u32_e32 v94, vcc, s6, v94
	v_addc_co_u32_e32 v95, vcc, 0, v95, vcc
	global_load_dwordx2 v[94:95], v[94:95], off offset:280
	ds_read2_b64 v[113:116], v87 offset1:243
	s_waitcnt vmcnt(8) lgkmcnt(0)
	v_mul_f32_e32 v119, v114, v118
	v_mul_f32_e32 v120, v113, v118
	v_fma_f32 v119, v113, v117, -v119
	v_fmac_f32_e32 v120, v114, v117
	ds_write_b64 v87, v[119:120]
	ds_read2_b64 v[117:120], v91 offset0:2 offset1:245
	s_waitcnt vmcnt(7)
	v_mul_f32_e32 v113, v116, v122
	v_fma_f32 v135, v115, v121, -v113
	v_mul_f32_e32 v136, v115, v122
	v_fmac_f32_e32 v136, v116, v121
	s_waitcnt vmcnt(6) lgkmcnt(0)
	v_mul_f32_e32 v113, v118, v124
	v_fma_f32 v121, v117, v123, -v113
	ds_read2_b64 v[113:116], v92 offset0:6 offset1:249
	v_mul_f32_e32 v122, v117, v124
	s_waitcnt vmcnt(5)
	v_mul_f32_e32 v117, v120, v126
	v_mul_f32_e32 v124, v119, v126
	v_fmac_f32_e32 v122, v118, v123
	v_fma_f32 v123, v119, v125, -v117
	v_fmac_f32_e32 v124, v120, v125
	s_waitcnt vmcnt(4) lgkmcnt(0)
	v_mul_f32_e32 v117, v116, v128
	v_mul_f32_e32 v120, v115, v128
	v_fma_f32 v119, v115, v127, -v117
	v_fmac_f32_e32 v120, v116, v127
	ds_read2_b64 v[115:118], v90 offset0:12 offset1:255
	s_waitcnt vmcnt(3)
	v_mul_f32_e32 v125, v114, v130
	v_fma_f32 v125, v113, v129, -v125
	v_mul_f32_e32 v126, v113, v130
	v_fmac_f32_e32 v126, v114, v129
	s_waitcnt vmcnt(2) lgkmcnt(0)
	v_mul_f32_e32 v113, v116, v132
	v_fma_f32 v113, v115, v131, -v113
	v_mul_f32_e32 v114, v115, v132
	s_waitcnt vmcnt(1)
	v_mul_f32_e32 v115, v118, v134
	v_fmac_f32_e32 v114, v116, v131
	v_fma_f32 v115, v117, v133, -v115
	v_mul_f32_e32 v116, v117, v134
	v_add_u32_e32 v117, 0x1680, v87
	ds_write2_b64 v117, v[119:120], v[113:114] offset0:9 offset1:252
	ds_read_b64 v[113:114], v87 offset:15552
	v_add_u32_e32 v117, 0x780, v87
	v_fmac_f32_e32 v116, v118, v133
	ds_write2_b64 v117, v[135:136], v[125:126] offset0:3 offset1:246
	v_add_u32_e32 v117, 0x25c0, v87
	ds_write2_b64 v117, v[115:116], v[121:122] offset0:7 offset1:250
	s_waitcnt vmcnt(0) lgkmcnt(2)
	v_mul_f32_e32 v115, v114, v95
	v_mul_f32_e32 v116, v113, v95
	v_fma_f32 v115, v113, v94, -v115
	v_fmac_f32_e32 v116, v114, v94
	ds_write2_b64 v93, v[123:124], v[115:116] offset0:5 offset1:248
	s_waitcnt lgkmcnt(0)
	s_barrier
	ds_read2_b64 v[113:116], v87 offset1:243
	ds_read2_b64 v[117:120], v92 offset0:6 offset1:249
	ds_read2_b64 v[121:124], v91 offset0:2 offset1:245
	s_waitcnt lgkmcnt(1)
	v_add_f32_e32 v94, v113, v119
	v_add_f32_e32 v95, v114, v120
	s_waitcnt lgkmcnt(0)
	v_add_f32_e32 v125, v119, v121
	v_add_f32_e32 v94, v94, v121
	v_add_f32_e32 v95, v95, v122
	v_fma_f32 v113, -0.5, v125, v113
	v_add_f32_e32 v125, v120, v122
	v_sub_f32_e32 v129, v120, v122
	v_sub_f32_e32 v130, v119, v121
	ds_read_b64 v[127:128], v87 offset:15552
	ds_read2_b64 v[119:122], v90 offset0:12 offset1:255
	v_fma_f32 v114, -0.5, v125, v114
	v_mov_b32_e32 v125, v113
	v_mov_b32_e32 v126, v114
	v_fmac_f32_e32 v125, 0xbf5db3d7, v129
	v_fmac_f32_e32 v126, 0x3f5db3d7, v130
	s_waitcnt lgkmcnt(0)
	s_barrier
	ds_write2_b64 v104, v[94:95], v[125:126] offset1:1
	v_add_f32_e32 v95, v116, v120
	v_add_f32_e32 v125, v119, v123
	v_sub_f32_e32 v126, v120, v124
	v_add_f32_e32 v120, v120, v124
	v_add_f32_e32 v94, v115, v119
	v_fmac_f32_e32 v113, 0x3f5db3d7, v129
	v_fmac_f32_e32 v114, 0xbf5db3d7, v130
	v_fma_f32 v115, -0.5, v125, v115
	v_fmac_f32_e32 v116, -0.5, v120
	v_sub_f32_e32 v119, v119, v123
	ds_write_b64 v104, v[113:114] offset:16
	v_mov_b32_e32 v113, v115
	v_mov_b32_e32 v114, v116
	v_add_f32_e32 v94, v94, v123
	v_add_f32_e32 v95, v95, v124
	v_fmac_f32_e32 v113, 0xbf5db3d7, v126
	v_fmac_f32_e32 v114, 0x3f5db3d7, v119
	;; [unrolled: 1-line block ×4, first 2 shown]
	ds_write2_b64 v103, v[94:95], v[113:114] offset1:1
	ds_write_b64 v103, v[115:116] offset:16
	v_add_f32_e32 v103, v121, v127
	v_add_f32_e32 v104, v122, v128
	;; [unrolled: 1-line block ×4, first 2 shown]
	v_fma_f32 v117, -0.5, v103, v117
	v_fmac_f32_e32 v118, -0.5, v104
	v_sub_f32_e32 v113, v122, v128
	v_sub_f32_e32 v114, v121, v127
	v_mov_b32_e32 v103, v117
	v_mov_b32_e32 v104, v118
	v_add_f32_e32 v94, v94, v127
	v_add_f32_e32 v95, v95, v128
	v_fmac_f32_e32 v103, 0xbf5db3d7, v113
	v_fmac_f32_e32 v104, 0x3f5db3d7, v114
	;; [unrolled: 1-line block ×4, first 2 shown]
	ds_write2_b64 v100, v[94:95], v[103:104] offset1:1
	ds_write_b64 v100, v[117:118] offset:16
	s_waitcnt lgkmcnt(0)
	s_barrier
	ds_read_b64 v[94:95], v87 offset:15552
	ds_read2_b64 v[113:116], v90 offset0:12 offset1:255
	s_waitcnt lgkmcnt(1)
	v_mul_f32_e32 v100, v31, v95
	v_mul_f32_e32 v31, v31, v94
	v_fmac_f32_e32 v100, v30, v94
	v_fma_f32 v94, v30, v95, -v31
	s_waitcnt lgkmcnt(0)
	v_mul_f32_e32 v95, v29, v116
	v_mul_f32_e32 v29, v29, v115
	v_fmac_f32_e32 v95, v28, v115
	v_fma_f32 v103, v28, v116, -v29
	ds_read2_b64 v[28:31], v91 offset0:2 offset1:245
	v_mul_f32_e32 v104, v17, v114
	v_mul_f32_e32 v17, v17, v113
	v_fmac_f32_e32 v104, v16, v113
	v_fma_f32 v113, v16, v114, -v17
	s_waitcnt lgkmcnt(0)
	v_mul_f32_e32 v114, v19, v31
	v_mul_f32_e32 v16, v19, v30
	v_fmac_f32_e32 v114, v18, v30
	v_fma_f32 v115, v18, v31, -v16
	ds_read2_b64 v[16:19], v92 offset0:6 offset1:249
	v_mul_f32_e32 v116, v7, v29
	v_mul_f32_e32 v7, v7, v28
	v_fmac_f32_e32 v116, v6, v28
	v_fma_f32 v6, v6, v29, -v7
	ds_read2_b64 v[28:31], v87 offset1:243
	s_waitcnt lgkmcnt(1)
	v_mul_f32_e32 v117, v5, v19
	v_mul_f32_e32 v5, v5, v18
	v_fma_f32 v7, v4, v19, -v5
	v_fmac_f32_e32 v117, v4, v18
	s_waitcnt lgkmcnt(0)
	v_add_f32_e32 v5, v29, v7
	v_add_f32_e32 v5, v5, v6
	v_sub_f32_e32 v118, v7, v6
	v_add_f32_e32 v7, v7, v6
	v_add_f32_e32 v6, v117, v116
	v_fma_f32 v6, -0.5, v6, v28
	v_fma_f32 v7, -0.5, v7, v29
	v_add_f32_e32 v4, v28, v117
	v_sub_f32_e32 v28, v117, v116
	v_mov_b32_e32 v18, v6
	v_mov_b32_e32 v19, v7
	v_add_f32_e32 v4, v4, v116
	v_fmac_f32_e32 v18, 0xbf5db3d7, v118
	v_fmac_f32_e32 v19, 0x3f5db3d7, v28
	;; [unrolled: 1-line block ×4, first 2 shown]
	s_barrier
	ds_write2_b64 v101, v[4:5], v[18:19] offset1:3
	ds_write_b64 v101, v[6:7] offset:48
	v_add_f32_e32 v5, v104, v114
	v_add_f32_e32 v6, v113, v115
	;; [unrolled: 1-line block ×3, first 2 shown]
	v_fma_f32 v30, -0.5, v5, v30
	v_add_f32_e32 v5, v31, v113
	v_fmac_f32_e32 v31, -0.5, v6
	v_sub_f32_e32 v18, v113, v115
	v_sub_f32_e32 v19, v104, v114
	v_mov_b32_e32 v6, v30
	v_mov_b32_e32 v7, v31
	v_add_f32_e32 v4, v4, v114
	v_add_f32_e32 v5, v5, v115
	v_fmac_f32_e32 v6, 0xbf5db3d7, v18
	v_fmac_f32_e32 v7, 0x3f5db3d7, v19
	ds_write2_b64 v97, v[4:5], v[6:7] offset1:3
	v_add_f32_e32 v5, v95, v100
	v_add_f32_e32 v6, v103, v94
	;; [unrolled: 1-line block ×3, first 2 shown]
	v_fma_f32 v16, -0.5, v5, v16
	v_add_f32_e32 v5, v17, v103
	v_fmac_f32_e32 v17, -0.5, v6
	v_fmac_f32_e32 v30, 0x3f5db3d7, v18
	v_fmac_f32_e32 v31, 0xbf5db3d7, v19
	v_sub_f32_e32 v18, v103, v94
	v_sub_f32_e32 v19, v95, v100
	v_mov_b32_e32 v6, v16
	v_mov_b32_e32 v7, v17
	v_add_f32_e32 v4, v4, v100
	v_add_f32_e32 v5, v5, v94
	v_fmac_f32_e32 v6, 0xbf5db3d7, v18
	v_fmac_f32_e32 v7, 0x3f5db3d7, v19
	;; [unrolled: 1-line block ×4, first 2 shown]
	ds_write_b64 v97, v[30:31] offset:48
	ds_write2_b64 v96, v[4:5], v[6:7] offset1:3
	ds_write_b64 v96, v[16:17] offset:48
	s_waitcnt lgkmcnt(0)
	s_barrier
	ds_read_b64 v[16:17], v87 offset:15552
	ds_read2_b64 v[4:7], v90 offset0:12 offset1:255
	s_waitcnt lgkmcnt(1)
	v_mul_f32_e32 v28, v23, v17
	v_fmac_f32_e32 v28, v22, v16
	v_mul_f32_e32 v16, v23, v16
	v_fma_f32 v22, v22, v17, -v16
	ds_read2_b64 v[16:19], v91 offset0:2 offset1:245
	s_waitcnt lgkmcnt(1)
	v_mul_f32_e32 v23, v21, v7
	v_fmac_f32_e32 v23, v20, v6
	v_mul_f32_e32 v6, v21, v6
	v_mul_f32_e32 v21, v9, v5
	v_fmac_f32_e32 v21, v8, v4
	v_mul_f32_e32 v4, v9, v4
	v_fma_f32 v29, v8, v5, -v4
	s_waitcnt lgkmcnt(0)
	v_mul_f32_e32 v30, v11, v19
	v_mul_f32_e32 v4, v11, v18
	v_fma_f32 v20, v20, v7, -v6
	v_fmac_f32_e32 v30, v10, v18
	v_fma_f32 v18, v10, v19, -v4
	ds_read2_b64 v[4:7], v92 offset0:6 offset1:249
	ds_read2_b64 v[8:11], v87 offset1:243
	v_mul_f32_e32 v19, v3, v17
	v_fmac_f32_e32 v19, v2, v16
	v_mul_f32_e32 v3, v3, v16
	s_waitcnt lgkmcnt(1)
	v_mul_f32_e32 v16, v1, v7
	v_mul_f32_e32 v1, v1, v6
	v_fma_f32 v2, v2, v17, -v3
	v_fma_f32 v3, v0, v7, -v1
	v_fmac_f32_e32 v16, v0, v6
	s_waitcnt lgkmcnt(0)
	v_add_f32_e32 v1, v9, v3
	v_add_f32_e32 v1, v1, v2
	v_sub_f32_e32 v17, v3, v2
	v_add_f32_e32 v3, v3, v2
	v_add_f32_e32 v2, v16, v19
	v_fma_f32 v2, -0.5, v2, v8
	v_fma_f32 v3, -0.5, v3, v9
	v_add_f32_e32 v0, v8, v16
	v_sub_f32_e32 v8, v16, v19
	v_mov_b32_e32 v6, v2
	v_mov_b32_e32 v7, v3
	v_add_f32_e32 v0, v0, v19
	v_fmac_f32_e32 v6, 0xbf5db3d7, v17
	v_fmac_f32_e32 v7, 0x3f5db3d7, v8
	;; [unrolled: 1-line block ×4, first 2 shown]
	s_barrier
	ds_write2_b64 v98, v[0:1], v[6:7] offset1:9
	ds_write_b64 v98, v[2:3] offset:144
	v_add_f32_e32 v1, v21, v30
	v_add_f32_e32 v2, v29, v18
	;; [unrolled: 1-line block ×3, first 2 shown]
	v_fma_f32 v10, -0.5, v1, v10
	v_add_f32_e32 v1, v11, v29
	v_fmac_f32_e32 v11, -0.5, v2
	v_sub_f32_e32 v6, v29, v18
	v_sub_f32_e32 v7, v21, v30
	v_mov_b32_e32 v2, v10
	v_mov_b32_e32 v3, v11
	v_add_f32_e32 v0, v0, v30
	v_add_f32_e32 v1, v1, v18
	v_fmac_f32_e32 v2, 0xbf5db3d7, v6
	v_fmac_f32_e32 v3, 0x3f5db3d7, v7
	ds_write2_b64 v99, v[0:1], v[2:3] offset1:9
	v_add_f32_e32 v1, v23, v28
	v_add_f32_e32 v2, v20, v22
	;; [unrolled: 1-line block ×3, first 2 shown]
	v_fma_f32 v4, -0.5, v1, v4
	v_add_f32_e32 v1, v5, v20
	v_fmac_f32_e32 v5, -0.5, v2
	v_fmac_f32_e32 v10, 0x3f5db3d7, v6
	v_fmac_f32_e32 v11, 0xbf5db3d7, v7
	v_sub_f32_e32 v6, v20, v22
	v_sub_f32_e32 v7, v23, v28
	v_mov_b32_e32 v2, v4
	v_mov_b32_e32 v3, v5
	v_add_f32_e32 v0, v0, v28
	v_add_f32_e32 v1, v1, v22
	v_fmac_f32_e32 v2, 0xbf5db3d7, v6
	v_fmac_f32_e32 v3, 0x3f5db3d7, v7
	;; [unrolled: 1-line block ×4, first 2 shown]
	ds_write_b64 v99, v[10:11] offset:144
	ds_write2_b64 v102, v[0:1], v[2:3] offset1:9
	ds_write_b64 v102, v[4:5] offset:144
	s_waitcnt lgkmcnt(0)
	s_barrier
	ds_read_b64 v[4:5], v87 offset:15552
	ds_read2_b64 v[0:3], v90 offset0:12 offset1:255
	s_waitcnt lgkmcnt(1)
	v_mul_f32_e32 v10, v35, v5
	s_waitcnt lgkmcnt(0)
	v_mul_f32_e32 v16, v33, v3
	v_fmac_f32_e32 v10, v34, v4
	v_mul_f32_e32 v4, v35, v4
	v_fmac_f32_e32 v16, v32, v2
	v_mul_f32_e32 v2, v33, v2
	v_fma_f32 v11, v34, v5, -v4
	v_fma_f32 v17, v32, v3, -v2
	ds_read2_b64 v[2:5], v91 offset0:2 offset1:245
	v_mul_f32_e32 v18, v25, v1
	v_fmac_f32_e32 v18, v24, v0
	v_mul_f32_e32 v0, v25, v0
	v_fma_f32 v19, v24, v1, -v0
	s_waitcnt lgkmcnt(0)
	v_mul_f32_e32 v20, v27, v5
	v_mul_f32_e32 v0, v27, v4
	v_fmac_f32_e32 v20, v26, v4
	v_fma_f32 v21, v26, v5, -v0
	ds_read2_b64 v[4:7], v92 offset0:6 offset1:249
	v_mul_f32_e32 v8, v15, v3
	v_mul_f32_e32 v0, v15, v2
	v_fmac_f32_e32 v8, v14, v2
	v_fma_f32 v9, v14, v3, -v0
	ds_read2_b64 v[0:3], v87 offset1:243
	s_waitcnt lgkmcnt(1)
	v_mul_f32_e32 v14, v13, v7
	v_fmac_f32_e32 v14, v12, v6
	v_mul_f32_e32 v6, v13, v6
	v_fma_f32 v12, v12, v7, -v6
	s_waitcnt lgkmcnt(0)
	v_add_f32_e32 v7, v1, v12
	v_add_f32_e32 v7, v7, v9
	v_sub_f32_e32 v13, v12, v9
	v_add_f32_e32 v9, v12, v9
	v_add_f32_e32 v12, v14, v8
	;; [unrolled: 1-line block ×3, first 2 shown]
	v_fma_f32 v0, -0.5, v12, v0
	v_fma_f32 v1, -0.5, v9, v1
	v_add_f32_e32 v6, v6, v8
	v_sub_f32_e32 v12, v14, v8
	v_mov_b32_e32 v8, v0
	v_mov_b32_e32 v9, v1
	v_fmac_f32_e32 v8, 0xbf5db3d7, v13
	v_fmac_f32_e32 v9, 0x3f5db3d7, v12
	;; [unrolled: 1-line block ×4, first 2 shown]
	s_barrier
	ds_write2_b64 v106, v[6:7], v[8:9] offset1:27
	ds_write_b64 v106, v[0:1] offset:432
	v_add_f32_e32 v1, v18, v20
	v_add_f32_e32 v6, v19, v21
	;; [unrolled: 1-line block ×3, first 2 shown]
	v_fma_f32 v2, -0.5, v1, v2
	v_add_f32_e32 v1, v3, v19
	v_fmac_f32_e32 v3, -0.5, v6
	v_sub_f32_e32 v8, v19, v21
	v_sub_f32_e32 v9, v18, v20
	v_mov_b32_e32 v6, v2
	v_mov_b32_e32 v7, v3
	v_add_f32_e32 v0, v0, v20
	v_add_f32_e32 v1, v1, v21
	v_fmac_f32_e32 v6, 0xbf5db3d7, v8
	v_fmac_f32_e32 v7, 0x3f5db3d7, v9
	ds_write2_b64 v105, v[0:1], v[6:7] offset1:27
	v_add_f32_e32 v0, v16, v10
	v_add_f32_e32 v1, v4, v16
	v_fma_f32 v4, -0.5, v0, v4
	v_sub_f32_e32 v6, v17, v11
	v_mov_b32_e32 v0, v4
	v_fmac_f32_e32 v0, 0xbf5db3d7, v6
	v_fmac_f32_e32 v4, 0x3f5db3d7, v6
	v_add_f32_e32 v6, v1, v10
	v_add_f32_e32 v1, v5, v17
	;; [unrolled: 1-line block ×4, first 2 shown]
	v_fmac_f32_e32 v5, -0.5, v1
	v_fmac_f32_e32 v2, 0x3f5db3d7, v8
	v_sub_f32_e32 v8, v16, v10
	v_mov_b32_e32 v1, v5
	v_fmac_f32_e32 v3, 0xbf5db3d7, v9
	v_fmac_f32_e32 v1, 0x3f5db3d7, v8
	v_fmac_f32_e32 v5, 0xbf5db3d7, v8
	ds_write_b64 v105, v[2:3] offset:432
	ds_write2_b64 v107, v[6:7], v[0:1] offset1:27
	ds_write_b64 v107, v[4:5] offset:432
	s_waitcnt lgkmcnt(0)
	s_barrier
	ds_read2_b64 v[0:3], v92 offset0:6 offset1:249
	ds_read2_b64 v[4:7], v91 offset0:2 offset1:245
	;; [unrolled: 1-line block ×3, first 2 shown]
	s_waitcnt lgkmcnt(2)
	v_mul_f32_e32 v12, v41, v3
	v_fmac_f32_e32 v12, v40, v2
	v_mul_f32_e32 v2, v41, v2
	v_fma_f32 v13, v40, v3, -v2
	s_waitcnt lgkmcnt(1)
	v_mul_f32_e32 v2, v43, v4
	v_mul_f32_e32 v16, v39, v7
	v_fma_f32 v15, v42, v5, -v2
	v_fmac_f32_e32 v16, v38, v6
	v_mul_f32_e32 v2, v39, v6
	s_waitcnt lgkmcnt(0)
	v_mul_f32_e32 v6, v37, v8
	v_fma_f32 v17, v38, v7, -v2
	v_fma_f32 v19, v36, v9, -v6
	ds_read_b64 v[6:7], v87 offset:15552
	v_mul_f32_e32 v14, v43, v5
	v_fmac_f32_e32 v14, v42, v4
	ds_read2_b64 v[2:5], v87 offset1:243
	v_mul_f32_e32 v18, v37, v9
	s_waitcnt lgkmcnt(1)
	v_mul_f32_e32 v22, v47, v7
	v_fmac_f32_e32 v22, v46, v6
	v_mul_f32_e32 v6, v47, v6
	v_fma_f32 v23, v46, v7, -v6
	v_add_f32_e32 v7, v12, v14
	v_fmac_f32_e32 v18, v36, v8
	v_mul_f32_e32 v8, v45, v10
	s_waitcnt lgkmcnt(0)
	v_add_f32_e32 v6, v2, v12
	v_fma_f32 v2, -0.5, v7, v2
	v_fma_f32 v21, v44, v11, -v8
	v_sub_f32_e32 v7, v13, v15
	v_mov_b32_e32 v8, v2
	v_add_f32_e32 v9, v13, v15
	v_mul_f32_e32 v20, v45, v11
	v_fmac_f32_e32 v8, 0xbf5db3d7, v7
	v_fmac_f32_e32 v2, 0x3f5db3d7, v7
	v_add_f32_e32 v7, v3, v13
	v_fma_f32 v3, -0.5, v9, v3
	v_fmac_f32_e32 v20, v44, v10
	v_sub_f32_e32 v10, v12, v14
	v_mov_b32_e32 v9, v3
	v_add_f32_e32 v11, v18, v16
	v_fmac_f32_e32 v9, 0x3f5db3d7, v10
	v_fmac_f32_e32 v3, 0xbf5db3d7, v10
	v_add_f32_e32 v10, v4, v18
	v_fma_f32 v4, -0.5, v11, v4
	v_sub_f32_e32 v11, v19, v17
	v_mov_b32_e32 v12, v4
	v_add_f32_e32 v13, v19, v17
	v_fmac_f32_e32 v12, 0xbf5db3d7, v11
	v_fmac_f32_e32 v4, 0x3f5db3d7, v11
	v_add_f32_e32 v11, v5, v19
	v_fmac_f32_e32 v5, -0.5, v13
	v_add_f32_e32 v6, v6, v14
	v_add_f32_e32 v7, v7, v15
	v_sub_f32_e32 v14, v18, v16
	v_mov_b32_e32 v13, v5
	v_add_f32_e32 v15, v20, v22
	v_fmac_f32_e32 v13, 0x3f5db3d7, v14
	v_fmac_f32_e32 v5, 0xbf5db3d7, v14
	v_add_f32_e32 v14, v0, v20
	v_fma_f32 v0, -0.5, v15, v0
	v_add_f32_e32 v10, v10, v16
	v_add_f32_e32 v11, v11, v17
	v_sub_f32_e32 v15, v21, v23
	v_mov_b32_e32 v16, v0
	v_add_f32_e32 v17, v21, v23
	v_fmac_f32_e32 v16, 0xbf5db3d7, v15
	v_fmac_f32_e32 v0, 0x3f5db3d7, v15
	v_add_f32_e32 v15, v1, v21
	v_fmac_f32_e32 v1, -0.5, v17
	v_sub_f32_e32 v20, v20, v22
	v_mov_b32_e32 v17, v1
	v_add_f32_e32 v14, v14, v22
	v_add_f32_e32 v15, v15, v23
	v_fmac_f32_e32 v17, 0x3f5db3d7, v20
	v_fmac_f32_e32 v1, 0xbf5db3d7, v20
	s_barrier
	ds_write2_b64 v108, v[6:7], v[8:9] offset1:81
	ds_write_b64 v108, v[2:3] offset:1296
	ds_write2_b64 v109, v[10:11], v[12:13] offset1:81
	ds_write_b64 v109, v[4:5] offset:1296
	;; [unrolled: 2-line block ×3, first 2 shown]
	s_waitcnt lgkmcnt(0)
	s_barrier
	ds_read2_b64 v[0:3], v92 offset0:6 offset1:249
	ds_read2_b64 v[4:7], v87 offset1:243
	ds_read2_b64 v[8:11], v91 offset0:2 offset1:245
	ds_read2_b64 v[12:15], v90 offset0:12 offset1:255
	ds_read_b64 v[16:17], v87 offset:15552
	s_waitcnt lgkmcnt(4)
	v_mul_f32_e32 v20, v49, v3
	v_fmac_f32_e32 v20, v48, v2
	v_mul_f32_e32 v2, v49, v2
	v_fma_f32 v21, v48, v3, -v2
	s_waitcnt lgkmcnt(2)
	v_mul_f32_e32 v2, v51, v8
	v_mul_f32_e32 v22, v51, v9
	v_fma_f32 v9, v50, v9, -v2
	s_waitcnt lgkmcnt(1)
	v_mul_f32_e32 v2, v49, v12
	v_mul_f32_e32 v23, v49, v13
	v_fma_f32 v13, v48, v13, -v2
	v_mul_f32_e32 v2, v51, v10
	v_fmac_f32_e32 v22, v50, v8
	v_fma_f32 v25, v50, v11, -v2
	v_mul_f32_e32 v2, v53, v14
	v_fma_f32 v27, v52, v15, -v2
	s_waitcnt lgkmcnt(0)
	v_mul_f32_e32 v2, v55, v16
	v_add_f32_e32 v3, v20, v22
	v_mul_f32_e32 v28, v55, v17
	v_fma_f32 v17, v54, v17, -v2
	v_add_f32_e32 v2, v4, v20
	v_fma_f32 v4, -0.5, v3, v4
	v_sub_f32_e32 v3, v21, v9
	v_mov_b32_e32 v8, v4
	v_fmac_f32_e32 v8, 0xbf5db3d7, v3
	v_fmac_f32_e32 v4, 0x3f5db3d7, v3
	v_add_f32_e32 v3, v5, v21
	v_mul_f32_e32 v24, v51, v11
	v_add_f32_e32 v3, v3, v9
	v_add_f32_e32 v9, v21, v9
	v_fmac_f32_e32 v23, v48, v12
	v_fmac_f32_e32 v24, v50, v10
	v_fma_f32 v5, -0.5, v9, v5
	v_sub_f32_e32 v10, v20, v22
	v_mov_b32_e32 v9, v5
	v_add_f32_e32 v11, v23, v24
	v_fmac_f32_e32 v9, 0x3f5db3d7, v10
	v_fmac_f32_e32 v5, 0xbf5db3d7, v10
	v_add_f32_e32 v10, v6, v23
	v_fma_f32 v6, -0.5, v11, v6
	v_sub_f32_e32 v11, v13, v25
	v_mov_b32_e32 v12, v6
	v_mul_f32_e32 v26, v53, v15
	v_fmac_f32_e32 v12, 0xbf5db3d7, v11
	v_fmac_f32_e32 v6, 0x3f5db3d7, v11
	v_add_f32_e32 v11, v7, v13
	v_add_f32_e32 v13, v13, v25
	v_fmac_f32_e32 v26, v52, v14
	v_fmac_f32_e32 v28, v54, v16
	v_fmac_f32_e32 v7, -0.5, v13
	v_sub_f32_e32 v14, v23, v24
	v_mov_b32_e32 v13, v7
	v_add_f32_e32 v15, v26, v28
	v_fmac_f32_e32 v13, 0x3f5db3d7, v14
	v_fmac_f32_e32 v7, 0xbf5db3d7, v14
	v_add_f32_e32 v14, v0, v26
	v_fma_f32 v0, -0.5, v15, v0
	v_sub_f32_e32 v15, v27, v17
	v_mov_b32_e32 v16, v0
	v_fmac_f32_e32 v16, 0xbf5db3d7, v15
	v_fmac_f32_e32 v0, 0x3f5db3d7, v15
	v_add_f32_e32 v15, v1, v27
	v_add_f32_e32 v15, v15, v17
	;; [unrolled: 1-line block ×3, first 2 shown]
	v_fmac_f32_e32 v1, -0.5, v17
	v_sub_f32_e32 v20, v26, v28
	v_mov_b32_e32 v17, v1
	v_add_f32_e32 v2, v2, v22
	v_add_f32_e32 v10, v10, v24
	;; [unrolled: 1-line block ×4, first 2 shown]
	v_fmac_f32_e32 v17, 0x3f5db3d7, v20
	v_fmac_f32_e32 v1, 0xbf5db3d7, v20
	s_barrier
	ds_write2_b64 v87, v[2:3], v[8:9] offset1:243
	ds_write2_b64 v92, v[4:5], v[10:11] offset0:6 offset1:249
	ds_write2_b64 v90, v[12:13], v[6:7] offset0:12 offset1:255
	;; [unrolled: 1-line block ×3, first 2 shown]
	ds_write_b64 v111, v[0:1] offset:15552
	s_waitcnt lgkmcnt(0)
	s_barrier
	ds_read2_b64 v[0:3], v92 offset0:6 offset1:249
	ds_read2_b64 v[4:7], v87 offset1:243
	ds_read2_b64 v[8:11], v91 offset0:2 offset1:245
	ds_read2_b64 v[12:15], v90 offset0:12 offset1:255
	ds_read_b64 v[16:17], v87 offset:15552
	s_waitcnt lgkmcnt(4)
	v_mul_f32_e32 v20, v57, v3
	v_fmac_f32_e32 v20, v56, v2
	v_mul_f32_e32 v2, v57, v2
	v_fma_f32 v21, v56, v3, -v2
	s_waitcnt lgkmcnt(2)
	v_mul_f32_e32 v2, v59, v8
	v_mul_f32_e32 v22, v59, v9
	v_fma_f32 v9, v58, v9, -v2
	s_waitcnt lgkmcnt(1)
	v_mul_f32_e32 v2, v61, v12
	v_mul_f32_e32 v23, v61, v13
	v_fma_f32 v13, v60, v13, -v2
	v_mul_f32_e32 v2, v63, v10
	v_fmac_f32_e32 v22, v58, v8
	v_fma_f32 v25, v62, v11, -v2
	v_mul_f32_e32 v2, v65, v14
	v_fma_f32 v27, v64, v15, -v2
	s_waitcnt lgkmcnt(0)
	v_mul_f32_e32 v2, v67, v16
	v_add_f32_e32 v3, v20, v22
	v_mul_f32_e32 v28, v67, v17
	v_fma_f32 v17, v66, v17, -v2
	v_add_f32_e32 v2, v4, v20
	v_fma_f32 v4, -0.5, v3, v4
	v_sub_f32_e32 v3, v21, v9
	v_mov_b32_e32 v8, v4
	v_fmac_f32_e32 v8, 0xbf5db3d7, v3
	v_fmac_f32_e32 v4, 0x3f5db3d7, v3
	v_add_f32_e32 v3, v5, v21
	v_mul_f32_e32 v24, v63, v11
	v_add_f32_e32 v3, v3, v9
	v_add_f32_e32 v9, v21, v9
	v_fmac_f32_e32 v23, v60, v12
	v_fmac_f32_e32 v24, v62, v10
	v_fma_f32 v5, -0.5, v9, v5
	v_sub_f32_e32 v10, v20, v22
	v_mov_b32_e32 v9, v5
	v_add_f32_e32 v11, v23, v24
	v_fmac_f32_e32 v9, 0x3f5db3d7, v10
	v_fmac_f32_e32 v5, 0xbf5db3d7, v10
	v_add_f32_e32 v10, v6, v23
	v_fma_f32 v6, -0.5, v11, v6
	v_sub_f32_e32 v11, v13, v25
	v_mov_b32_e32 v12, v6
	v_mul_f32_e32 v26, v65, v15
	v_fmac_f32_e32 v12, 0xbf5db3d7, v11
	v_fmac_f32_e32 v6, 0x3f5db3d7, v11
	v_add_f32_e32 v11, v7, v13
	v_add_f32_e32 v13, v13, v25
	v_fmac_f32_e32 v26, v64, v14
	v_fmac_f32_e32 v28, v66, v16
	v_fmac_f32_e32 v7, -0.5, v13
	v_sub_f32_e32 v14, v23, v24
	v_mov_b32_e32 v13, v7
	v_add_f32_e32 v15, v26, v28
	v_fmac_f32_e32 v13, 0x3f5db3d7, v14
	v_fmac_f32_e32 v7, 0xbf5db3d7, v14
	v_add_f32_e32 v14, v0, v26
	v_fma_f32 v0, -0.5, v15, v0
	v_sub_f32_e32 v15, v27, v17
	v_mov_b32_e32 v16, v0
	v_fmac_f32_e32 v16, 0xbf5db3d7, v15
	v_fmac_f32_e32 v0, 0x3f5db3d7, v15
	v_add_f32_e32 v15, v1, v27
	v_add_f32_e32 v15, v15, v17
	;; [unrolled: 1-line block ×3, first 2 shown]
	v_fmac_f32_e32 v1, -0.5, v17
	v_sub_f32_e32 v20, v26, v28
	v_mad_u64_u32 v[18:19], s[6:7], s2, v74, 0
	v_add_f32_e32 v2, v2, v22
	v_mov_b32_e32 v17, v1
	v_fmac_f32_e32 v1, 0xbf5db3d7, v20
	v_add_f32_e32 v10, v10, v24
	v_add_f32_e32 v11, v11, v25
	;; [unrolled: 1-line block ×3, first 2 shown]
	v_fmac_f32_e32 v17, 0x3f5db3d7, v20
	ds_write_b64 v87, v[8:9] offset:5832
	ds_write_b64 v87, v[4:5] offset:11664
	ds_write2_b64 v87, v[2:3], v[10:11] offset1:243
	ds_write_b64 v87, v[14:15] offset:3888
	ds_write2_b64 v90, v[12:13], v[16:17] offset0:12 offset1:255
	ds_write2_b64 v93, v[6:7], v[0:1] offset0:5 offset1:248
	s_waitcnt lgkmcnt(0)
	s_barrier
	ds_read2_b64 v[0:3], v87 offset1:243
	v_mov_b32_e32 v4, v19
	v_mad_u64_u32 v[4:5], s[2:3], s3, v74, v[4:5]
	s_mov_b32 s2, 0x80feb65f
	s_waitcnt lgkmcnt(0)
	v_mul_f32_e32 v5, v86, v1
	v_fmac_f32_e32 v5, v85, v0
	v_cvt_f64_f32_e32 v[5:6], v5
	s_mov_b32 s3, 0x3f3df756
	v_mad_u64_u32 v[8:9], s[6:7], s0, v89, 0
	v_mul_f64 v[5:6], v[5:6], s[2:3]
	v_mul_f32_e32 v0, v86, v0
	v_fma_f32 v0, v85, v1, -v0
	v_mov_b32_e32 v19, v4
	v_mov_b32_e32 v4, v9
	v_cvt_f64_f32_e32 v[0:1], v0
	v_mov_b32_e32 v14, s5
	s_mul_hi_u32 s5, s0, 0x16c8
	v_mad_u64_u32 v[9:10], s[6:7], s1, v89, v[4:5]
	v_cvt_f32_f64_e32 v10, v[5:6]
	ds_read2_b64 v[4:7], v92 offset0:6 offset1:249
	v_mul_f64 v[0:1], v[0:1], s[2:3]
	s_mul_i32 s7, s0, 0x16c8
	s_waitcnt lgkmcnt(0)
	v_mul_f32_e32 v12, v84, v7
	v_fmac_f32_e32 v12, v83, v6
	v_cvt_f64_f32_e32 v[12:13], v12
	v_mul_f32_e32 v6, v84, v6
	v_fma_f32 v6, v83, v7, -v6
	v_cvt_f64_f32_e32 v[6:7], v6
	v_cvt_f32_f64_e32 v11, v[0:1]
	v_lshlrev_b64 v[0:1], 3, v[18:19]
	v_mul_f64 v[12:13], v[12:13], s[2:3]
	v_add_co_u32_e32 v16, vcc, s4, v0
	v_addc_co_u32_e32 v17, vcc, v14, v1, vcc
	v_lshlrev_b64 v[0:1], 3, v[8:9]
	v_mul_f64 v[14:15], v[6:7], s[2:3]
	ds_read2_b64 v[6:9], v91 offset0:2 offset1:245
	v_add_co_u32_e32 v0, vcc, v16, v0
	v_addc_co_u32_e32 v1, vcc, v17, v1, vcc
	global_store_dwordx2 v[0:1], v[10:11], off
	v_cvt_f32_f64_e32 v10, v[12:13]
	s_waitcnt lgkmcnt(0)
	v_mul_f32_e32 v12, v82, v7
	v_fmac_f32_e32 v12, v81, v6
	v_mul_f32_e32 v6, v82, v6
	v_fma_f32 v6, v81, v7, -v6
	v_cvt_f64_f32_e32 v[6:7], v6
	v_cvt_f64_f32_e32 v[12:13], v12
	v_cvt_f32_f64_e32 v11, v[14:15]
	s_mul_i32 s4, s1, 0x16c8
	v_mul_f64 v[6:7], v[6:7], s[2:3]
	v_mul_f64 v[12:13], v[12:13], s[2:3]
	s_add_i32 s6, s5, s4
	v_mov_b32_e32 v15, s6
	v_add_co_u32_e32 v14, vcc, s7, v0
	v_mul_f32_e32 v0, v80, v3
	v_addc_co_u32_e32 v15, vcc, v1, v15, vcc
	v_fmac_f32_e32 v0, v79, v2
	global_store_dwordx2 v[14:15], v[10:11], off
	v_cvt_f32_f64_e32 v11, v[6:7]
	v_cvt_f64_f32_e32 v[6:7], v0
	v_mul_f32_e32 v0, v80, v2
	v_fma_f32 v0, v79, v3, -v0
	v_cvt_f32_f64_e32 v10, v[12:13]
	v_cvt_f64_f32_e32 v[12:13], v0
	ds_read2_b64 v[0:3], v90 offset0:12 offset1:255
	v_mov_b32_e32 v16, s6
	v_add_co_u32_e32 v14, vcc, s7, v14
	v_addc_co_u32_e32 v15, vcc, v15, v16, vcc
	s_waitcnt lgkmcnt(0)
	v_mul_f32_e32 v16, v76, v1
	v_fmac_f32_e32 v16, v75, v0
	v_mul_f32_e32 v0, v76, v0
	v_fma_f32 v0, v75, v1, -v0
	v_mul_f64 v[6:7], v[6:7], s[2:3]
	v_mul_f64 v[12:13], v[12:13], s[2:3]
	v_cvt_f64_f32_e32 v[0:1], v0
	v_cvt_f64_f32_e32 v[16:17], v16
	global_store_dwordx2 v[14:15], v[10:11], off
	v_mad_u64_u32 v[14:15], s[4:5], s0, v88, v[14:15]
	v_mul_f64 v[0:1], v[0:1], s[2:3]
	v_mul_f64 v[10:11], v[16:17], s[2:3]
	v_cvt_f32_f64_e32 v6, v[6:7]
	v_cvt_f32_f64_e32 v7, v[12:13]
	s_mulk_i32 s1, 0xda08
	s_sub_i32 s4, s1, s0
	v_add_u32_e32 v15, s4, v15
	global_store_dwordx2 v[14:15], v[6:7], off
	v_cvt_f32_f64_e32 v7, v[0:1]
	v_mul_f32_e32 v0, v78, v9
	v_fmac_f32_e32 v0, v77, v8
	v_mul_f32_e32 v8, v78, v8
	v_fma_f32 v8, v77, v9, -v8
	v_cvt_f32_f64_e32 v6, v[10:11]
	v_cvt_f64_f32_e32 v[0:1], v0
	v_cvt_f64_f32_e32 v[8:9], v8
	v_mov_b32_e32 v11, s6
	v_add_co_u32_e32 v10, vcc, s7, v14
	v_addc_co_u32_e32 v11, vcc, v15, v11, vcc
	global_store_dwordx2 v[10:11], v[6:7], off
	v_mul_f64 v[0:1], v[0:1], s[2:3]
	v_mul_f64 v[6:7], v[8:9], s[2:3]
	v_mul_f32_e32 v8, v73, v5
	v_fmac_f32_e32 v8, v72, v4
	v_cvt_f64_f32_e32 v[8:9], v8
	v_mul_f32_e32 v4, v73, v4
	v_fma_f32 v4, v72, v5, -v4
	v_cvt_f64_f32_e32 v[4:5], v4
	v_cvt_f32_f64_e32 v0, v[0:1]
	v_cvt_f32_f64_e32 v1, v[6:7]
	v_mul_f64 v[6:7], v[8:9], s[2:3]
	v_mul_f64 v[4:5], v[4:5], s[2:3]
	v_mov_b32_e32 v9, s6
	v_add_co_u32_e32 v8, vcc, s7, v10
	v_addc_co_u32_e32 v9, vcc, v11, v9, vcc
	global_store_dwordx2 v[8:9], v[0:1], off
	v_cvt_f32_f64_e32 v0, v[6:7]
	v_mul_f32_e32 v6, v71, v3
	v_fmac_f32_e32 v6, v70, v2
	v_mul_f32_e32 v2, v71, v2
	v_cvt_f32_f64_e32 v1, v[4:5]
	v_mad_u64_u32 v[4:5], s[0:1], s0, v88, v[8:9]
	v_fma_f32 v2, v70, v3, -v2
	v_cvt_f64_f32_e32 v[6:7], v6
	v_cvt_f64_f32_e32 v[2:3], v2
	ds_read_b64 v[8:9], v87 offset:15552
	v_add_u32_e32 v5, s4, v5
	global_store_dwordx2 v[4:5], v[0:1], off
	v_mul_f64 v[0:1], v[6:7], s[2:3]
	v_mul_f64 v[2:3], v[2:3], s[2:3]
	s_waitcnt lgkmcnt(0)
	v_mul_f32_e32 v6, v69, v9
	v_fmac_f32_e32 v6, v68, v8
	v_mul_f32_e32 v8, v69, v8
	v_fma_f32 v8, v68, v9, -v8
	v_cvt_f64_f32_e32 v[6:7], v6
	v_cvt_f64_f32_e32 v[8:9], v8
	v_cvt_f32_f64_e32 v0, v[0:1]
	v_cvt_f32_f64_e32 v1, v[2:3]
	v_mul_f64 v[2:3], v[6:7], s[2:3]
	v_mul_f64 v[6:7], v[8:9], s[2:3]
	v_mov_b32_e32 v8, s6
	v_add_co_u32_e32 v4, vcc, s7, v4
	v_addc_co_u32_e32 v5, vcc, v5, v8, vcc
	global_store_dwordx2 v[4:5], v[0:1], off
	v_cvt_f32_f64_e32 v0, v[2:3]
	v_cvt_f32_f64_e32 v1, v[6:7]
	v_mov_b32_e32 v3, s6
	v_add_co_u32_e32 v2, vcc, s7, v4
	v_addc_co_u32_e32 v3, vcc, v5, v3, vcc
	global_store_dwordx2 v[2:3], v[0:1], off
.LBB0_2:
	s_endpgm
	.section	.rodata,"a",@progbits
	.p2align	6, 0x0
	.amdhsa_kernel bluestein_single_back_len2187_dim1_sp_op_CI_CI
		.amdhsa_group_segment_fixed_size 17496
		.amdhsa_private_segment_fixed_size 0
		.amdhsa_kernarg_size 104
		.amdhsa_user_sgpr_count 6
		.amdhsa_user_sgpr_private_segment_buffer 1
		.amdhsa_user_sgpr_dispatch_ptr 0
		.amdhsa_user_sgpr_queue_ptr 0
		.amdhsa_user_sgpr_kernarg_segment_ptr 1
		.amdhsa_user_sgpr_dispatch_id 0
		.amdhsa_user_sgpr_flat_scratch_init 0
		.amdhsa_user_sgpr_private_segment_size 0
		.amdhsa_uses_dynamic_stack 0
		.amdhsa_system_sgpr_private_segment_wavefront_offset 0
		.amdhsa_system_sgpr_workgroup_id_x 1
		.amdhsa_system_sgpr_workgroup_id_y 0
		.amdhsa_system_sgpr_workgroup_id_z 0
		.amdhsa_system_sgpr_workgroup_info 0
		.amdhsa_system_vgpr_workitem_id 0
		.amdhsa_next_free_vgpr 137
		.amdhsa_next_free_sgpr 20
		.amdhsa_reserve_vcc 1
		.amdhsa_reserve_flat_scratch 0
		.amdhsa_float_round_mode_32 0
		.amdhsa_float_round_mode_16_64 0
		.amdhsa_float_denorm_mode_32 3
		.amdhsa_float_denorm_mode_16_64 3
		.amdhsa_dx10_clamp 1
		.amdhsa_ieee_mode 1
		.amdhsa_fp16_overflow 0
		.amdhsa_exception_fp_ieee_invalid_op 0
		.amdhsa_exception_fp_denorm_src 0
		.amdhsa_exception_fp_ieee_div_zero 0
		.amdhsa_exception_fp_ieee_overflow 0
		.amdhsa_exception_fp_ieee_underflow 0
		.amdhsa_exception_fp_ieee_inexact 0
		.amdhsa_exception_int_div_zero 0
	.end_amdhsa_kernel
	.text
.Lfunc_end0:
	.size	bluestein_single_back_len2187_dim1_sp_op_CI_CI, .Lfunc_end0-bluestein_single_back_len2187_dim1_sp_op_CI_CI
                                        ; -- End function
	.section	.AMDGPU.csdata,"",@progbits
; Kernel info:
; codeLenInByte = 9728
; NumSgprs: 24
; NumVgprs: 137
; ScratchSize: 0
; MemoryBound: 0
; FloatMode: 240
; IeeeMode: 1
; LDSByteSize: 17496 bytes/workgroup (compile time only)
; SGPRBlocks: 2
; VGPRBlocks: 34
; NumSGPRsForWavesPerEU: 24
; NumVGPRsForWavesPerEU: 137
; Occupancy: 1
; WaveLimiterHint : 1
; COMPUTE_PGM_RSRC2:SCRATCH_EN: 0
; COMPUTE_PGM_RSRC2:USER_SGPR: 6
; COMPUTE_PGM_RSRC2:TRAP_HANDLER: 0
; COMPUTE_PGM_RSRC2:TGID_X_EN: 1
; COMPUTE_PGM_RSRC2:TGID_Y_EN: 0
; COMPUTE_PGM_RSRC2:TGID_Z_EN: 0
; COMPUTE_PGM_RSRC2:TIDIG_COMP_CNT: 0
	.type	__hip_cuid_868ebf532344398,@object ; @__hip_cuid_868ebf532344398
	.section	.bss,"aw",@nobits
	.globl	__hip_cuid_868ebf532344398
__hip_cuid_868ebf532344398:
	.byte	0                               ; 0x0
	.size	__hip_cuid_868ebf532344398, 1

	.ident	"AMD clang version 19.0.0git (https://github.com/RadeonOpenCompute/llvm-project roc-6.4.0 25133 c7fe45cf4b819c5991fe208aaa96edf142730f1d)"
	.section	".note.GNU-stack","",@progbits
	.addrsig
	.addrsig_sym __hip_cuid_868ebf532344398
	.amdgpu_metadata
---
amdhsa.kernels:
  - .args:
      - .actual_access:  read_only
        .address_space:  global
        .offset:         0
        .size:           8
        .value_kind:     global_buffer
      - .actual_access:  read_only
        .address_space:  global
        .offset:         8
        .size:           8
        .value_kind:     global_buffer
      - .actual_access:  read_only
        .address_space:  global
        .offset:         16
        .size:           8
        .value_kind:     global_buffer
      - .actual_access:  read_only
        .address_space:  global
        .offset:         24
        .size:           8
        .value_kind:     global_buffer
      - .actual_access:  read_only
        .address_space:  global
        .offset:         32
        .size:           8
        .value_kind:     global_buffer
      - .offset:         40
        .size:           8
        .value_kind:     by_value
      - .address_space:  global
        .offset:         48
        .size:           8
        .value_kind:     global_buffer
      - .address_space:  global
        .offset:         56
        .size:           8
        .value_kind:     global_buffer
      - .address_space:  global
        .offset:         64
        .size:           8
        .value_kind:     global_buffer
      - .address_space:  global
        .offset:         72
        .size:           8
        .value_kind:     global_buffer
      - .offset:         80
        .size:           4
        .value_kind:     by_value
      - .address_space:  global
        .offset:         88
        .size:           8
        .value_kind:     global_buffer
      - .address_space:  global
        .offset:         96
        .size:           8
        .value_kind:     global_buffer
    .group_segment_fixed_size: 17496
    .kernarg_segment_align: 8
    .kernarg_segment_size: 104
    .language:       OpenCL C
    .language_version:
      - 2
      - 0
    .max_flat_workgroup_size: 243
    .name:           bluestein_single_back_len2187_dim1_sp_op_CI_CI
    .private_segment_fixed_size: 0
    .sgpr_count:     24
    .sgpr_spill_count: 0
    .symbol:         bluestein_single_back_len2187_dim1_sp_op_CI_CI.kd
    .uniform_work_group_size: 1
    .uses_dynamic_stack: false
    .vgpr_count:     137
    .vgpr_spill_count: 0
    .wavefront_size: 64
amdhsa.target:   amdgcn-amd-amdhsa--gfx906
amdhsa.version:
  - 1
  - 2
...

	.end_amdgpu_metadata
